;; amdgpu-corpus repo=pytorch/pytorch kind=compiled arch=gfx1250 opt=O3
	.amdgcn_target "amdgcn-amd-amdhsa--gfx1250"
	.amdhsa_code_object_version 6
	.section	.text._ZN2at6native24vectorized_gather_kernelILi16ElEEvPcS2_PT0_illllb,"axG",@progbits,_ZN2at6native24vectorized_gather_kernelILi16ElEEvPcS2_PT0_illllb,comdat
	.protected	_ZN2at6native24vectorized_gather_kernelILi16ElEEvPcS2_PT0_illllb ; -- Begin function _ZN2at6native24vectorized_gather_kernelILi16ElEEvPcS2_PT0_illllb
	.globl	_ZN2at6native24vectorized_gather_kernelILi16ElEEvPcS2_PT0_illllb
	.p2align	8
	.type	_ZN2at6native24vectorized_gather_kernelILi16ElEEvPcS2_PT0_illllb,@function
_ZN2at6native24vectorized_gather_kernelILi16ElEEvPcS2_PT0_illllb: ; @_ZN2at6native24vectorized_gather_kernelILi16ElEEvPcS2_PT0_illllb
; %bb.0:
	s_clause 0x1
	s_load_b32 s4, s[0:1], 0x40
	s_load_b64 s[2:3], s[0:1], 0x10
	s_getreg_b32 s13, hwreg(HW_REG_IB_STS2, 6, 4)
	s_wait_kmcnt 0x0
	s_bitcmp1_b32 s4, 0
	s_cselect_b32 s16, -1, 0
	s_bfe_u32 s4, ttmp6, 0x4000c
	s_and_b32 s5, ttmp6, 15
	s_add_co_i32 s4, s4, 1
	s_delay_alu instid0(SALU_CYCLE_1) | instskip(NEXT) | instid1(SALU_CYCLE_1)
	s_mul_i32 s4, ttmp9, s4
	s_add_co_i32 s5, s5, s4
	s_cmp_eq_u32 s13, 0
	s_cselect_b32 s12, ttmp9, s5
	s_load_b64 s[14:15], s[2:3], s12 offset:0x0 scale_offset
	s_load_b256 s[4:11], s[0:1], 0x20
	s_wait_kmcnt 0x0
	v_cmp_lt_i64_e64 s2, s[14:15], 0
	s_and_b32 s2, s16, s2
	s_delay_alu instid0(SALU_CYCLE_1) | instskip(SKIP_2) | instid1(SALU_CYCLE_1)
	s_and_b32 s2, s2, exec_lo
	s_cselect_b32 s3, s7, 0
	s_cselect_b32 s2, s6, 0
	s_add_nc_u64 s[2:3], s[2:3], s[14:15]
	s_delay_alu instid0(SALU_CYCLE_1)
	v_cmp_lt_i64_e64 s11, s[2:3], 0
	s_and_b32 vcc_lo, exec_lo, s11
	s_cbranch_vccnz .LBB0_8
; %bb.1:
	v_cmp_ge_i64_e64 s6, s[2:3], s[6:7]
	s_get_pc_i64 s[14:15]
	s_add_nc_u64 s[14:15], s[14:15], .str@rel64+4
	s_delay_alu instid0(SALU_CYCLE_1) | instskip(SKIP_1) | instid1(SALU_CYCLE_1)
	s_cmp_eq_u64 s[14:15], 0
	s_cselect_b32 s7, -1, 0
	s_or_b32 s11, s6, s7
	s_delay_alu instid0(SALU_CYCLE_1)
	s_and_not1_b32 vcc_lo, exec_lo, s11
	s_cbranch_vccz .LBB0_6
; %bb.2:
	s_load_b32 s6, s[0:1], 0x54
	s_bfe_u32 s7, ttmp6, 0x40010
	s_bfe_u32 s14, ttmp6, 0x40004
	s_add_co_i32 s7, s7, 1
	s_delay_alu instid0(SALU_CYCLE_1) | instskip(NEXT) | instid1(SALU_CYCLE_1)
	s_mul_i32 s7, ttmp7, s7
	s_add_co_i32 s14, s14, s7
	s_wait_kmcnt 0x0
	s_and_b32 s6, s6, 0xffff
	s_cmp_eq_u32 s13, 0
	s_mov_b32 s13, exec_lo
	s_cselect_b32 s7, ttmp7, s14
	s_delay_alu instid0(SALU_CYCLE_1) | instskip(NEXT) | instid1(SALU_CYCLE_1)
	s_mul_i32 s7, s7, s6
	v_add_lshl_u32 v0, s7, v0, 4
	s_mov_b32 s7, 0
	s_delay_alu instid0(VALU_DEP_1) | instskip(NEXT) | instid1(VALU_DEP_1)
	v_ashrrev_i32_e32 v1, 31, v0
	v_cmpx_gt_i64_e64 s[4:5], v[0:1]
	s_cbranch_execz .LBB0_5
; %bb.3:
	s_add_nc_u64 s[14:15], s[0:1], 0x48
	s_load_b32 s20, s[14:15], 0x4
	s_load_b128 s[16:19], s[0:1], 0x0
	s_wait_xcnt 0x0
	s_mul_u64 s[0:1], s[2:3], s[8:9]
	s_wait_kmcnt 0x0
	s_mul_i32 s6, s6, s20
	s_add_nc_u64 s[0:1], s[18:19], s[0:1]
	s_lshl_b32 s14, s6, 4
	s_mul_i32 s6, s12, s10
	v_add_nc_u32_e32 v2, s14, v0
	s_add_nc_u64 s[2:3], s[16:17], s[6:7]
.LBB0_4:                                ; =>This Inner Loop Header: Depth=1
	v_add_nc_u64_e32 v[4:5], s[0:1], v[0:1]
	s_delay_alu instid0(VALU_DEP_2) | instskip(SKIP_1) | instid1(VALU_DEP_2)
	v_ashrrev_i32_e32 v3, 31, v2
	v_add_nc_u64_e32 v[8:9], s[2:3], v[0:1]
	v_cmp_le_i64_e32 vcc_lo, s[4:5], v[2:3]
	global_load_b128 v[4:7], v[4:5], off
	v_mov_b64_e32 v[0:1], v[2:3]
	v_add_nc_u32_e32 v2, s14, v2
	s_or_b32 s7, vcc_lo, s7
	s_wait_loadcnt 0x0
	global_store_b128 v[8:9], v[4:7], off
	s_wait_xcnt 0x0
	s_and_not1_b32 exec_lo, exec_lo, s7
	s_cbranch_execnz .LBB0_4
.LBB0_5:
	s_or_b32 exec_lo, exec_lo, s13
.LBB0_6:
	s_delay_alu instid0(SALU_CYCLE_1)
	s_and_b32 vcc_lo, exec_lo, s11
	s_cbranch_vccnz .LBB0_9
.LBB0_7:
	s_endpgm
.LBB0_8:
	s_cbranch_execz .LBB0_7
.LBB0_9:
	s_trap 2
	; divergent unreachable
	s_endpgm
	.section	.rodata,"a",@progbits
	.p2align	6, 0x0
	.amdhsa_kernel _ZN2at6native24vectorized_gather_kernelILi16ElEEvPcS2_PT0_illllb
		.amdhsa_group_segment_fixed_size 0
		.amdhsa_private_segment_fixed_size 0
		.amdhsa_kernarg_size 328
		.amdhsa_user_sgpr_count 2
		.amdhsa_user_sgpr_dispatch_ptr 0
		.amdhsa_user_sgpr_queue_ptr 0
		.amdhsa_user_sgpr_kernarg_segment_ptr 1
		.amdhsa_user_sgpr_dispatch_id 0
		.amdhsa_user_sgpr_kernarg_preload_length 0
		.amdhsa_user_sgpr_kernarg_preload_offset 0
		.amdhsa_user_sgpr_private_segment_size 0
		.amdhsa_wavefront_size32 1
		.amdhsa_uses_dynamic_stack 0
		.amdhsa_enable_private_segment 0
		.amdhsa_system_sgpr_workgroup_id_x 1
		.amdhsa_system_sgpr_workgroup_id_y 1
		.amdhsa_system_sgpr_workgroup_id_z 0
		.amdhsa_system_sgpr_workgroup_info 0
		.amdhsa_system_vgpr_workitem_id 0
		.amdhsa_next_free_vgpr 10
		.amdhsa_next_free_sgpr 21
		.amdhsa_named_barrier_count 0
		.amdhsa_reserve_vcc 1
		.amdhsa_float_round_mode_32 0
		.amdhsa_float_round_mode_16_64 0
		.amdhsa_float_denorm_mode_32 3
		.amdhsa_float_denorm_mode_16_64 3
		.amdhsa_fp16_overflow 0
		.amdhsa_memory_ordered 1
		.amdhsa_forward_progress 1
		.amdhsa_inst_pref_size 4
		.amdhsa_round_robin_scheduling 0
		.amdhsa_exception_fp_ieee_invalid_op 0
		.amdhsa_exception_fp_denorm_src 0
		.amdhsa_exception_fp_ieee_div_zero 0
		.amdhsa_exception_fp_ieee_overflow 0
		.amdhsa_exception_fp_ieee_underflow 0
		.amdhsa_exception_fp_ieee_inexact 0
		.amdhsa_exception_int_div_zero 0
	.end_amdhsa_kernel
	.section	.text._ZN2at6native24vectorized_gather_kernelILi16ElEEvPcS2_PT0_illllb,"axG",@progbits,_ZN2at6native24vectorized_gather_kernelILi16ElEEvPcS2_PT0_illllb,comdat
.Lfunc_end0:
	.size	_ZN2at6native24vectorized_gather_kernelILi16ElEEvPcS2_PT0_illllb, .Lfunc_end0-_ZN2at6native24vectorized_gather_kernelILi16ElEEvPcS2_PT0_illllb
                                        ; -- End function
	.set _ZN2at6native24vectorized_gather_kernelILi16ElEEvPcS2_PT0_illllb.num_vgpr, 10
	.set _ZN2at6native24vectorized_gather_kernelILi16ElEEvPcS2_PT0_illllb.num_agpr, 0
	.set _ZN2at6native24vectorized_gather_kernelILi16ElEEvPcS2_PT0_illllb.numbered_sgpr, 21
	.set _ZN2at6native24vectorized_gather_kernelILi16ElEEvPcS2_PT0_illllb.num_named_barrier, 0
	.set _ZN2at6native24vectorized_gather_kernelILi16ElEEvPcS2_PT0_illllb.private_seg_size, 0
	.set _ZN2at6native24vectorized_gather_kernelILi16ElEEvPcS2_PT0_illllb.uses_vcc, 1
	.set _ZN2at6native24vectorized_gather_kernelILi16ElEEvPcS2_PT0_illllb.uses_flat_scratch, 0
	.set _ZN2at6native24vectorized_gather_kernelILi16ElEEvPcS2_PT0_illllb.has_dyn_sized_stack, 0
	.set _ZN2at6native24vectorized_gather_kernelILi16ElEEvPcS2_PT0_illllb.has_recursion, 0
	.set _ZN2at6native24vectorized_gather_kernelILi16ElEEvPcS2_PT0_illllb.has_indirect_call, 0
	.section	.AMDGPU.csdata,"",@progbits
; Kernel info:
; codeLenInByte = 464
; TotalNumSgprs: 23
; NumVgprs: 10
; ScratchSize: 0
; MemoryBound: 0
; FloatMode: 240
; IeeeMode: 1
; LDSByteSize: 0 bytes/workgroup (compile time only)
; SGPRBlocks: 0
; VGPRBlocks: 0
; NumSGPRsForWavesPerEU: 23
; NumVGPRsForWavesPerEU: 10
; NamedBarCnt: 0
; Occupancy: 16
; WaveLimiterHint : 1
; COMPUTE_PGM_RSRC2:SCRATCH_EN: 0
; COMPUTE_PGM_RSRC2:USER_SGPR: 2
; COMPUTE_PGM_RSRC2:TRAP_HANDLER: 0
; COMPUTE_PGM_RSRC2:TGID_X_EN: 1
; COMPUTE_PGM_RSRC2:TGID_Y_EN: 1
; COMPUTE_PGM_RSRC2:TGID_Z_EN: 0
; COMPUTE_PGM_RSRC2:TIDIG_COMP_CNT: 0
	.section	.text._ZN2at6native24vectorized_gather_kernelILi16EiEEvPcS2_PT0_illllb,"axG",@progbits,_ZN2at6native24vectorized_gather_kernelILi16EiEEvPcS2_PT0_illllb,comdat
	.protected	_ZN2at6native24vectorized_gather_kernelILi16EiEEvPcS2_PT0_illllb ; -- Begin function _ZN2at6native24vectorized_gather_kernelILi16EiEEvPcS2_PT0_illllb
	.globl	_ZN2at6native24vectorized_gather_kernelILi16EiEEvPcS2_PT0_illllb
	.p2align	8
	.type	_ZN2at6native24vectorized_gather_kernelILi16EiEEvPcS2_PT0_illllb,@function
_ZN2at6native24vectorized_gather_kernelILi16EiEEvPcS2_PT0_illllb: ; @_ZN2at6native24vectorized_gather_kernelILi16EiEEvPcS2_PT0_illllb
; %bb.0:
	s_clause 0x1
	s_load_b32 s4, s[0:1], 0x40
	s_load_b64 s[2:3], s[0:1], 0x10
	s_getreg_b32 s13, hwreg(HW_REG_IB_STS2, 6, 4)
	s_wait_kmcnt 0x0
	s_bitcmp1_b32 s4, 0
	s_cselect_b32 s16, -1, 0
	s_bfe_u32 s4, ttmp6, 0x4000c
	s_and_b32 s5, ttmp6, 15
	s_add_co_i32 s4, s4, 1
	s_delay_alu instid0(SALU_CYCLE_1) | instskip(NEXT) | instid1(SALU_CYCLE_1)
	s_mul_i32 s4, ttmp9, s4
	s_add_co_i32 s5, s5, s4
	s_cmp_eq_u32 s13, 0
	s_cselect_b32 s12, ttmp9, s5
	s_load_b32 s14, s[2:3], s12 offset:0x0 scale_offset
	s_load_b256 s[4:11], s[0:1], 0x20
	s_wait_kmcnt 0x0
	s_ashr_i32 s15, s14, 31
	s_delay_alu instid0(SALU_CYCLE_1) | instskip(SKIP_1) | instid1(SALU_CYCLE_1)
	v_cmp_lt_i64_e64 s2, s[14:15], 0
	s_and_b32 s2, s16, s2
	s_and_b32 s2, s2, exec_lo
	s_cselect_b32 s3, s7, 0
	s_cselect_b32 s2, s6, 0
	s_delay_alu instid0(SALU_CYCLE_1) | instskip(NEXT) | instid1(SALU_CYCLE_1)
	s_add_nc_u64 s[2:3], s[2:3], s[14:15]
	v_cmp_lt_i64_e64 s11, s[2:3], 0
	s_and_b32 vcc_lo, exec_lo, s11
	s_cbranch_vccnz .LBB1_8
; %bb.1:
	v_cmp_ge_i64_e64 s6, s[2:3], s[6:7]
	s_get_pc_i64 s[14:15]
	s_add_nc_u64 s[14:15], s[14:15], .str@rel64+4
	s_delay_alu instid0(SALU_CYCLE_1) | instskip(SKIP_1) | instid1(SALU_CYCLE_1)
	s_cmp_eq_u64 s[14:15], 0
	s_cselect_b32 s7, -1, 0
	s_or_b32 s11, s6, s7
	s_delay_alu instid0(SALU_CYCLE_1)
	s_and_not1_b32 vcc_lo, exec_lo, s11
	s_cbranch_vccz .LBB1_6
; %bb.2:
	s_load_b32 s6, s[0:1], 0x54
	s_bfe_u32 s7, ttmp6, 0x40010
	s_bfe_u32 s14, ttmp6, 0x40004
	s_add_co_i32 s7, s7, 1
	s_delay_alu instid0(SALU_CYCLE_1) | instskip(NEXT) | instid1(SALU_CYCLE_1)
	s_mul_i32 s7, ttmp7, s7
	s_add_co_i32 s14, s14, s7
	s_wait_kmcnt 0x0
	s_and_b32 s6, s6, 0xffff
	s_cmp_eq_u32 s13, 0
	s_mov_b32 s13, exec_lo
	s_cselect_b32 s7, ttmp7, s14
	s_delay_alu instid0(SALU_CYCLE_1) | instskip(NEXT) | instid1(SALU_CYCLE_1)
	s_mul_i32 s7, s7, s6
	v_add_lshl_u32 v0, s7, v0, 4
	s_mov_b32 s7, 0
	s_delay_alu instid0(VALU_DEP_1) | instskip(NEXT) | instid1(VALU_DEP_1)
	v_ashrrev_i32_e32 v1, 31, v0
	v_cmpx_gt_i64_e64 s[4:5], v[0:1]
	s_cbranch_execz .LBB1_5
; %bb.3:
	s_add_nc_u64 s[14:15], s[0:1], 0x48
	s_load_b32 s20, s[14:15], 0x4
	s_load_b128 s[16:19], s[0:1], 0x0
	s_wait_xcnt 0x0
	s_mul_u64 s[0:1], s[2:3], s[8:9]
	s_wait_kmcnt 0x0
	s_mul_i32 s6, s6, s20
	s_add_nc_u64 s[0:1], s[18:19], s[0:1]
	s_lshl_b32 s14, s6, 4
	s_mul_i32 s6, s12, s10
	v_add_nc_u32_e32 v2, s14, v0
	s_add_nc_u64 s[2:3], s[16:17], s[6:7]
.LBB1_4:                                ; =>This Inner Loop Header: Depth=1
	v_add_nc_u64_e32 v[4:5], s[0:1], v[0:1]
	s_delay_alu instid0(VALU_DEP_2) | instskip(SKIP_1) | instid1(VALU_DEP_2)
	v_ashrrev_i32_e32 v3, 31, v2
	v_add_nc_u64_e32 v[8:9], s[2:3], v[0:1]
	v_cmp_le_i64_e32 vcc_lo, s[4:5], v[2:3]
	global_load_b128 v[4:7], v[4:5], off
	v_mov_b64_e32 v[0:1], v[2:3]
	v_add_nc_u32_e32 v2, s14, v2
	s_or_b32 s7, vcc_lo, s7
	s_wait_loadcnt 0x0
	global_store_b128 v[8:9], v[4:7], off
	s_wait_xcnt 0x0
	s_and_not1_b32 exec_lo, exec_lo, s7
	s_cbranch_execnz .LBB1_4
.LBB1_5:
	s_or_b32 exec_lo, exec_lo, s13
.LBB1_6:
	s_delay_alu instid0(SALU_CYCLE_1)
	s_and_b32 vcc_lo, exec_lo, s11
	s_cbranch_vccnz .LBB1_9
.LBB1_7:
	s_endpgm
.LBB1_8:
	s_cbranch_execz .LBB1_7
.LBB1_9:
	s_trap 2
	; divergent unreachable
	s_endpgm
	.section	.rodata,"a",@progbits
	.p2align	6, 0x0
	.amdhsa_kernel _ZN2at6native24vectorized_gather_kernelILi16EiEEvPcS2_PT0_illllb
		.amdhsa_group_segment_fixed_size 0
		.amdhsa_private_segment_fixed_size 0
		.amdhsa_kernarg_size 328
		.amdhsa_user_sgpr_count 2
		.amdhsa_user_sgpr_dispatch_ptr 0
		.amdhsa_user_sgpr_queue_ptr 0
		.amdhsa_user_sgpr_kernarg_segment_ptr 1
		.amdhsa_user_sgpr_dispatch_id 0
		.amdhsa_user_sgpr_kernarg_preload_length 0
		.amdhsa_user_sgpr_kernarg_preload_offset 0
		.amdhsa_user_sgpr_private_segment_size 0
		.amdhsa_wavefront_size32 1
		.amdhsa_uses_dynamic_stack 0
		.amdhsa_enable_private_segment 0
		.amdhsa_system_sgpr_workgroup_id_x 1
		.amdhsa_system_sgpr_workgroup_id_y 1
		.amdhsa_system_sgpr_workgroup_id_z 0
		.amdhsa_system_sgpr_workgroup_info 0
		.amdhsa_system_vgpr_workitem_id 0
		.amdhsa_next_free_vgpr 10
		.amdhsa_next_free_sgpr 21
		.amdhsa_named_barrier_count 0
		.amdhsa_reserve_vcc 1
		.amdhsa_float_round_mode_32 0
		.amdhsa_float_round_mode_16_64 0
		.amdhsa_float_denorm_mode_32 3
		.amdhsa_float_denorm_mode_16_64 3
		.amdhsa_fp16_overflow 0
		.amdhsa_memory_ordered 1
		.amdhsa_forward_progress 1
		.amdhsa_inst_pref_size 4
		.amdhsa_round_robin_scheduling 0
		.amdhsa_exception_fp_ieee_invalid_op 0
		.amdhsa_exception_fp_denorm_src 0
		.amdhsa_exception_fp_ieee_div_zero 0
		.amdhsa_exception_fp_ieee_overflow 0
		.amdhsa_exception_fp_ieee_underflow 0
		.amdhsa_exception_fp_ieee_inexact 0
		.amdhsa_exception_int_div_zero 0
	.end_amdhsa_kernel
	.section	.text._ZN2at6native24vectorized_gather_kernelILi16EiEEvPcS2_PT0_illllb,"axG",@progbits,_ZN2at6native24vectorized_gather_kernelILi16EiEEvPcS2_PT0_illllb,comdat
.Lfunc_end1:
	.size	_ZN2at6native24vectorized_gather_kernelILi16EiEEvPcS2_PT0_illllb, .Lfunc_end1-_ZN2at6native24vectorized_gather_kernelILi16EiEEvPcS2_PT0_illllb
                                        ; -- End function
	.set _ZN2at6native24vectorized_gather_kernelILi16EiEEvPcS2_PT0_illllb.num_vgpr, 10
	.set _ZN2at6native24vectorized_gather_kernelILi16EiEEvPcS2_PT0_illllb.num_agpr, 0
	.set _ZN2at6native24vectorized_gather_kernelILi16EiEEvPcS2_PT0_illllb.numbered_sgpr, 21
	.set _ZN2at6native24vectorized_gather_kernelILi16EiEEvPcS2_PT0_illllb.num_named_barrier, 0
	.set _ZN2at6native24vectorized_gather_kernelILi16EiEEvPcS2_PT0_illllb.private_seg_size, 0
	.set _ZN2at6native24vectorized_gather_kernelILi16EiEEvPcS2_PT0_illllb.uses_vcc, 1
	.set _ZN2at6native24vectorized_gather_kernelILi16EiEEvPcS2_PT0_illllb.uses_flat_scratch, 0
	.set _ZN2at6native24vectorized_gather_kernelILi16EiEEvPcS2_PT0_illllb.has_dyn_sized_stack, 0
	.set _ZN2at6native24vectorized_gather_kernelILi16EiEEvPcS2_PT0_illllb.has_recursion, 0
	.set _ZN2at6native24vectorized_gather_kernelILi16EiEEvPcS2_PT0_illllb.has_indirect_call, 0
	.section	.AMDGPU.csdata,"",@progbits
; Kernel info:
; codeLenInByte = 468
; TotalNumSgprs: 23
; NumVgprs: 10
; ScratchSize: 0
; MemoryBound: 0
; FloatMode: 240
; IeeeMode: 1
; LDSByteSize: 0 bytes/workgroup (compile time only)
; SGPRBlocks: 0
; VGPRBlocks: 0
; NumSGPRsForWavesPerEU: 23
; NumVGPRsForWavesPerEU: 10
; NamedBarCnt: 0
; Occupancy: 16
; WaveLimiterHint : 1
; COMPUTE_PGM_RSRC2:SCRATCH_EN: 0
; COMPUTE_PGM_RSRC2:USER_SGPR: 2
; COMPUTE_PGM_RSRC2:TRAP_HANDLER: 0
; COMPUTE_PGM_RSRC2:TGID_X_EN: 1
; COMPUTE_PGM_RSRC2:TGID_Y_EN: 1
; COMPUTE_PGM_RSRC2:TGID_Z_EN: 0
; COMPUTE_PGM_RSRC2:TIDIG_COMP_CNT: 0
	.section	.text._ZN2at6native29vectorized_scatter_add_kernelILi16EflEEvPT0_PKS2_PKT1_illllii,"axG",@progbits,_ZN2at6native29vectorized_scatter_add_kernelILi16EflEEvPT0_PKS2_PKT1_illllii,comdat
	.protected	_ZN2at6native29vectorized_scatter_add_kernelILi16EflEEvPT0_PKS2_PKT1_illllii ; -- Begin function _ZN2at6native29vectorized_scatter_add_kernelILi16EflEEvPT0_PKS2_PKT1_illllii
	.globl	_ZN2at6native29vectorized_scatter_add_kernelILi16EflEEvPT0_PKS2_PKT1_illllii
	.p2align	8
	.type	_ZN2at6native29vectorized_scatter_add_kernelILi16EflEEvPT0_PKS2_PKT1_illllii,@function
_ZN2at6native29vectorized_scatter_add_kernelILi16EflEEvPT0_PKS2_PKT1_illllii: ; @_ZN2at6native29vectorized_scatter_add_kernelILi16EflEEvPT0_PKS2_PKT1_illllii
; %bb.0:
	s_load_b64 s[2:3], s[0:1], 0x40
	s_bfe_u32 s6, ttmp6, 0x4000c
	s_getreg_b32 s12, hwreg(HW_REG_IB_STS2, 6, 4)
	s_add_co_i32 s6, s6, 1
	s_delay_alu instid0(SALU_CYCLE_1) | instskip(SKIP_3) | instid1(SALU_CYCLE_2)
	s_mul_i32 s6, ttmp9, s6
	s_wait_kmcnt 0x0
	s_cvt_f32_u32 s4, s2
	s_sub_co_i32 s5, 0, s2
	v_rcp_iflag_f32_e32 v1, s4
	v_nop
	s_delay_alu instid0(TRANS32_DEP_1) | instskip(SKIP_1) | instid1(SALU_CYCLE_3)
	v_readfirstlane_b32 s4, v1
	s_mul_f32 s4, s4, 0x4f7ffffe
	s_cvt_u32_f32 s4, s4
	s_delay_alu instid0(SALU_CYCLE_3) | instskip(NEXT) | instid1(SALU_CYCLE_1)
	s_mul_i32 s5, s5, s4
	s_mul_hi_u32 s5, s4, s5
	s_delay_alu instid0(SALU_CYCLE_1)
	s_add_co_i32 s4, s4, s5
	s_and_b32 s5, ttmp6, 15
	v_mul_hi_u32 v1, v0, s4
	s_load_b32 s4, s[0:1], 0x18
	s_add_co_i32 s5, s5, s6
	s_cmp_eq_u32 s12, 0
	s_cselect_b32 s5, ttmp9, s5
	s_delay_alu instid0(VALU_DEP_1) | instskip(NEXT) | instid1(VALU_DEP_1)
	v_mul_lo_u32 v2, v1, s2
	v_dual_add_nc_u32 v3, 1, v1 :: v_dual_sub_nc_u32 v2, v0, v2
	s_delay_alu instid0(VALU_DEP_1) | instskip(SKIP_1) | instid1(VALU_DEP_2)
	v_subrev_nc_u32_e32 v4, s2, v2
	v_cmp_le_u32_e32 vcc_lo, s2, v2
	v_dual_cndmask_b32 v1, v1, v3 :: v_dual_cndmask_b32 v2, v2, v4
	s_delay_alu instid0(VALU_DEP_1) | instskip(NEXT) | instid1(VALU_DEP_2)
	v_add_nc_u32_e32 v3, 1, v1
	v_cmp_le_u32_e32 vcc_lo, s2, v2
	s_delay_alu instid0(VALU_DEP_2) | instskip(NEXT) | instid1(VALU_DEP_1)
	v_cndmask_b32_e32 v1, v1, v3, vcc_lo
	v_mad_u32 v8, s3, s5, v1
	s_mov_b32 s3, exec_lo
	s_wait_kmcnt 0x0
	s_delay_alu instid0(VALU_DEP_1)
	v_cmpx_gt_i32_e64 s4, v8
	s_cbranch_execz .LBB2_8
; %bb.1:
	s_load_b64 s[4:5], s[0:1], 0x10
	s_mov_b32 s3, exec_lo
	s_wait_kmcnt 0x0
	global_load_b64 v[2:3], v8, s[4:5] scale_offset
	s_wait_xcnt 0x0
	s_mov_b32 s4, -1
	s_wait_loadcnt 0x0
	v_cmpx_lt_i64_e32 -1, v[2:3]
	s_cbranch_execz .LBB2_7
; %bb.2:
	s_load_b256 s[4:11], s[0:1], 0x20
	s_get_pc_i64 s[14:15]
	s_add_nc_u64 s[14:15], s[14:15], .str.1@rel64+4
	s_delay_alu instid0(SALU_CYCLE_1) | instskip(SKIP_3) | instid1(SALU_CYCLE_1)
	s_cmp_eq_u64 s[14:15], 0
	s_wait_kmcnt 0x0
	v_cmp_le_i64_e32 vcc_lo, s[6:7], v[2:3]
	s_cselect_b32 s6, -1, 0
	s_or_b32 s6, vcc_lo, s6
	s_delay_alu instid0(SALU_CYCLE_1) | instskip(NEXT) | instid1(SALU_CYCLE_1)
	s_xor_b32 s11, s6, -1
	s_and_saveexec_b32 s7, s11
	s_cbranch_execz .LBB2_6
; %bb.3:
	s_bfe_u32 s11, ttmp6, 0x40010
	s_bfe_u32 s13, ttmp6, 0x40004
	s_add_co_i32 s11, s11, 1
	s_delay_alu instid0(SALU_CYCLE_1) | instskip(NEXT) | instid1(SALU_CYCLE_1)
	s_mul_i32 s11, ttmp7, s11
	s_add_co_i32 s13, s13, s11
	s_cmp_eq_u32 s12, 0
	s_mov_b32 s11, 0
	s_cselect_b32 s12, ttmp7, s13
	s_delay_alu instid0(SALU_CYCLE_1) | instskip(NEXT) | instid1(VALU_DEP_1)
	v_sub_nc_u32_e32 v4, s12, v1
	v_mul_lo_u32 v4, v4, s2
	s_delay_alu instid0(VALU_DEP_1) | instskip(NEXT) | instid1(VALU_DEP_1)
	v_add_lshl_u32 v4, v4, v0, 4
	v_ashrrev_i32_e32 v5, 31, v4
	s_delay_alu instid0(VALU_DEP_1)
	v_cmp_gt_i64_e32 vcc_lo, s[4:5], v[4:5]
	s_and_b32 exec_lo, exec_lo, vcc_lo
	s_cbranch_execz .LBB2_6
; %bb.4:
	s_clause 0x1
	s_load_b128 s[16:19], s[0:1], 0x0
	s_load_b32 s13, s[0:1], 0x4c
	v_mul_lo_u32 v8, v8, s10
	v_dual_lshlrev_b32 v1, 4, v1 :: v_dual_lshlrev_b32 v0, 4, v0
	s_wait_xcnt 0x0
	s_lshl_b32 s0, s12, 4
	s_delay_alu instid0(VALU_DEP_2) | instskip(SKIP_3) | instid1(SALU_CYCLE_1)
	v_ashrrev_i32_e32 v9, 31, v8
	s_wait_kmcnt 0x0
	v_mad_nc_u64_u32 v[6:7], v2, s8, s[16:17]
	s_lshl_b32 s1, s13, 4
	s_add_co_i32 s0, s0, s1
	s_delay_alu instid0(SALU_CYCLE_1) | instskip(SKIP_1) | instid1(SALU_CYCLE_1)
	v_sub_nc_u32_e32 v1, s0, v1
	s_mul_i32 s0, s2, s13
	s_lshl_b32 s0, s0, 4
	s_delay_alu instid0(VALU_DEP_1) | instskip(NEXT) | instid1(VALU_DEP_3)
	v_mad_u32 v0, s2, v1, v0
	v_mad_u32 v3, v3, s8, v7
	s_delay_alu instid0(VALU_DEP_1)
	v_mad_u32 v7, v2, s9, v3
	v_add_nc_u64_e32 v[2:3], s[18:19], v[8:9]
.LBB2_5:                                ; =>This Inner Loop Header: Depth=1
	s_delay_alu instid0(VALU_DEP_1) | instskip(NEXT) | instid1(VALU_DEP_3)
	v_add_nc_u64_e32 v[8:9], v[2:3], v[4:5]
	v_add_nc_u64_e32 v[4:5], v[6:7], v[4:5]
	s_delay_alu instid0(VALU_DEP_3) | instskip(NEXT) | instid1(VALU_DEP_1)
	v_ashrrev_i32_e32 v1, 31, v0
	v_cmp_le_i64_e32 vcc_lo, s[4:5], v[0:1]
	global_load_b128 v[8:11], v[8:9], off
	s_wait_xcnt 0x0
	s_wait_loadcnt 0x0
	global_atomic_add_f32 v[4:5], v8, off scope:SCOPE_DEV
	s_wait_xcnt 0x0
	global_atomic_add_f32 v[4:5], v9, off offset:4 scope:SCOPE_DEV
	s_wait_xcnt 0x0
	global_atomic_add_f32 v[4:5], v10, off offset:8 scope:SCOPE_DEV
	;; [unrolled: 2-line block ×3, first 2 shown]
	s_wait_xcnt 0x0
	v_mov_b64_e32 v[4:5], v[0:1]
	v_add_nc_u32_e32 v0, s0, v0
	s_or_b32 s11, vcc_lo, s11
	s_delay_alu instid0(SALU_CYCLE_1)
	s_and_not1_b32 exec_lo, exec_lo, s11
	s_cbranch_execnz .LBB2_5
.LBB2_6:
	s_or_b32 exec_lo, exec_lo, s7
	s_delay_alu instid0(SALU_CYCLE_1)
	s_or_not1_b32 s4, s6, exec_lo
.LBB2_7:
	s_or_b32 exec_lo, exec_lo, s3
	s_delay_alu instid0(SALU_CYCLE_1)
	s_and_b32 exec_lo, exec_lo, s4
	s_cbranch_execnz .LBB2_9
.LBB2_8:
	s_endpgm
.LBB2_9:
	s_trap 2
	; divergent unreachable
	s_endpgm
	.section	.rodata,"a",@progbits
	.p2align	6, 0x0
	.amdhsa_kernel _ZN2at6native29vectorized_scatter_add_kernelILi16EflEEvPT0_PKS2_PKT1_illllii
		.amdhsa_group_segment_fixed_size 0
		.amdhsa_private_segment_fixed_size 0
		.amdhsa_kernarg_size 328
		.amdhsa_user_sgpr_count 2
		.amdhsa_user_sgpr_dispatch_ptr 0
		.amdhsa_user_sgpr_queue_ptr 0
		.amdhsa_user_sgpr_kernarg_segment_ptr 1
		.amdhsa_user_sgpr_dispatch_id 0
		.amdhsa_user_sgpr_kernarg_preload_length 0
		.amdhsa_user_sgpr_kernarg_preload_offset 0
		.amdhsa_user_sgpr_private_segment_size 0
		.amdhsa_wavefront_size32 1
		.amdhsa_uses_dynamic_stack 0
		.amdhsa_enable_private_segment 0
		.amdhsa_system_sgpr_workgroup_id_x 1
		.amdhsa_system_sgpr_workgroup_id_y 1
		.amdhsa_system_sgpr_workgroup_id_z 0
		.amdhsa_system_sgpr_workgroup_info 0
		.amdhsa_system_vgpr_workitem_id 0
		.amdhsa_next_free_vgpr 12
		.amdhsa_next_free_sgpr 20
		.amdhsa_named_barrier_count 0
		.amdhsa_reserve_vcc 1
		.amdhsa_float_round_mode_32 0
		.amdhsa_float_round_mode_16_64 0
		.amdhsa_float_denorm_mode_32 3
		.amdhsa_float_denorm_mode_16_64 3
		.amdhsa_fp16_overflow 0
		.amdhsa_memory_ordered 1
		.amdhsa_forward_progress 1
		.amdhsa_inst_pref_size 6
		.amdhsa_round_robin_scheduling 0
		.amdhsa_exception_fp_ieee_invalid_op 0
		.amdhsa_exception_fp_denorm_src 0
		.amdhsa_exception_fp_ieee_div_zero 0
		.amdhsa_exception_fp_ieee_overflow 0
		.amdhsa_exception_fp_ieee_underflow 0
		.amdhsa_exception_fp_ieee_inexact 0
		.amdhsa_exception_int_div_zero 0
	.end_amdhsa_kernel
	.section	.text._ZN2at6native29vectorized_scatter_add_kernelILi16EflEEvPT0_PKS2_PKT1_illllii,"axG",@progbits,_ZN2at6native29vectorized_scatter_add_kernelILi16EflEEvPT0_PKS2_PKT1_illllii,comdat
.Lfunc_end2:
	.size	_ZN2at6native29vectorized_scatter_add_kernelILi16EflEEvPT0_PKS2_PKT1_illllii, .Lfunc_end2-_ZN2at6native29vectorized_scatter_add_kernelILi16EflEEvPT0_PKS2_PKT1_illllii
                                        ; -- End function
	.set _ZN2at6native29vectorized_scatter_add_kernelILi16EflEEvPT0_PKS2_PKT1_illllii.num_vgpr, 12
	.set _ZN2at6native29vectorized_scatter_add_kernelILi16EflEEvPT0_PKS2_PKT1_illllii.num_agpr, 0
	.set _ZN2at6native29vectorized_scatter_add_kernelILi16EflEEvPT0_PKS2_PKT1_illllii.numbered_sgpr, 20
	.set _ZN2at6native29vectorized_scatter_add_kernelILi16EflEEvPT0_PKS2_PKT1_illllii.num_named_barrier, 0
	.set _ZN2at6native29vectorized_scatter_add_kernelILi16EflEEvPT0_PKS2_PKT1_illllii.private_seg_size, 0
	.set _ZN2at6native29vectorized_scatter_add_kernelILi16EflEEvPT0_PKS2_PKT1_illllii.uses_vcc, 1
	.set _ZN2at6native29vectorized_scatter_add_kernelILi16EflEEvPT0_PKS2_PKT1_illllii.uses_flat_scratch, 0
	.set _ZN2at6native29vectorized_scatter_add_kernelILi16EflEEvPT0_PKS2_PKT1_illllii.has_dyn_sized_stack, 0
	.set _ZN2at6native29vectorized_scatter_add_kernelILi16EflEEvPT0_PKS2_PKT1_illllii.has_recursion, 0
	.set _ZN2at6native29vectorized_scatter_add_kernelILi16EflEEvPT0_PKS2_PKT1_illllii.has_indirect_call, 0
	.section	.AMDGPU.csdata,"",@progbits
; Kernel info:
; codeLenInByte = 724
; TotalNumSgprs: 22
; NumVgprs: 12
; ScratchSize: 0
; MemoryBound: 0
; FloatMode: 240
; IeeeMode: 1
; LDSByteSize: 0 bytes/workgroup (compile time only)
; SGPRBlocks: 0
; VGPRBlocks: 0
; NumSGPRsForWavesPerEU: 22
; NumVGPRsForWavesPerEU: 12
; NamedBarCnt: 0
; Occupancy: 16
; WaveLimiterHint : 1
; COMPUTE_PGM_RSRC2:SCRATCH_EN: 0
; COMPUTE_PGM_RSRC2:USER_SGPR: 2
; COMPUTE_PGM_RSRC2:TRAP_HANDLER: 0
; COMPUTE_PGM_RSRC2:TGID_X_EN: 1
; COMPUTE_PGM_RSRC2:TGID_Y_EN: 1
; COMPUTE_PGM_RSRC2:TGID_Z_EN: 0
; COMPUTE_PGM_RSRC2:TIDIG_COMP_CNT: 0
	.section	.text._ZN2at6native29vectorized_scatter_add_kernelILi16EfiEEvPT0_PKS2_PKT1_illllii,"axG",@progbits,_ZN2at6native29vectorized_scatter_add_kernelILi16EfiEEvPT0_PKS2_PKT1_illllii,comdat
	.protected	_ZN2at6native29vectorized_scatter_add_kernelILi16EfiEEvPT0_PKS2_PKT1_illllii ; -- Begin function _ZN2at6native29vectorized_scatter_add_kernelILi16EfiEEvPT0_PKS2_PKT1_illllii
	.globl	_ZN2at6native29vectorized_scatter_add_kernelILi16EfiEEvPT0_PKS2_PKT1_illllii
	.p2align	8
	.type	_ZN2at6native29vectorized_scatter_add_kernelILi16EfiEEvPT0_PKS2_PKT1_illllii,@function
_ZN2at6native29vectorized_scatter_add_kernelILi16EfiEEvPT0_PKS2_PKT1_illllii: ; @_ZN2at6native29vectorized_scatter_add_kernelILi16EfiEEvPT0_PKS2_PKT1_illllii
; %bb.0:
	s_load_b64 s[2:3], s[0:1], 0x40
	s_bfe_u32 s6, ttmp6, 0x4000c
	s_getreg_b32 s12, hwreg(HW_REG_IB_STS2, 6, 4)
	s_add_co_i32 s6, s6, 1
	s_delay_alu instid0(SALU_CYCLE_1) | instskip(SKIP_3) | instid1(SALU_CYCLE_2)
	s_mul_i32 s6, ttmp9, s6
	s_wait_kmcnt 0x0
	s_cvt_f32_u32 s4, s2
	s_sub_co_i32 s5, 0, s2
	v_rcp_iflag_f32_e32 v1, s4
	v_nop
	s_delay_alu instid0(TRANS32_DEP_1) | instskip(SKIP_1) | instid1(SALU_CYCLE_3)
	v_readfirstlane_b32 s4, v1
	s_mul_f32 s4, s4, 0x4f7ffffe
	s_cvt_u32_f32 s4, s4
	s_delay_alu instid0(SALU_CYCLE_3) | instskip(NEXT) | instid1(SALU_CYCLE_1)
	s_mul_i32 s5, s5, s4
	s_mul_hi_u32 s5, s4, s5
	s_delay_alu instid0(SALU_CYCLE_1)
	s_add_co_i32 s4, s4, s5
	s_and_b32 s5, ttmp6, 15
	v_mul_hi_u32 v1, v0, s4
	s_load_b32 s4, s[0:1], 0x18
	s_add_co_i32 s5, s5, s6
	s_cmp_eq_u32 s12, 0
	s_cselect_b32 s5, ttmp9, s5
	s_delay_alu instid0(VALU_DEP_1) | instskip(NEXT) | instid1(VALU_DEP_1)
	v_mul_lo_u32 v2, v1, s2
	v_dual_add_nc_u32 v3, 1, v1 :: v_dual_sub_nc_u32 v2, v0, v2
	s_delay_alu instid0(VALU_DEP_1) | instskip(SKIP_1) | instid1(VALU_DEP_2)
	v_subrev_nc_u32_e32 v4, s2, v2
	v_cmp_le_u32_e32 vcc_lo, s2, v2
	v_dual_cndmask_b32 v1, v1, v3 :: v_dual_cndmask_b32 v2, v2, v4
	s_delay_alu instid0(VALU_DEP_1) | instskip(NEXT) | instid1(VALU_DEP_2)
	v_add_nc_u32_e32 v3, 1, v1
	v_cmp_le_u32_e32 vcc_lo, s2, v2
	s_delay_alu instid0(VALU_DEP_2) | instskip(NEXT) | instid1(VALU_DEP_1)
	v_cndmask_b32_e32 v1, v1, v3, vcc_lo
	v_mad_u32 v8, s3, s5, v1
	s_mov_b32 s3, exec_lo
	s_wait_kmcnt 0x0
	s_delay_alu instid0(VALU_DEP_1)
	v_cmpx_gt_i32_e64 s4, v8
	s_cbranch_execz .LBB3_8
; %bb.1:
	s_load_b64 s[4:5], s[0:1], 0x10
	s_mov_b32 s3, exec_lo
	s_wait_kmcnt 0x0
	global_load_b32 v2, v8, s[4:5] scale_offset
	s_wait_xcnt 0x0
	s_mov_b32 s4, -1
	s_wait_loadcnt 0x0
	v_cmpx_lt_i32_e32 -1, v2
	s_cbranch_execz .LBB3_7
; %bb.2:
	s_load_b256 s[4:11], s[0:1], 0x20
	v_ashrrev_i32_e32 v3, 31, v2
	s_get_pc_i64 s[14:15]
	s_add_nc_u64 s[14:15], s[14:15], .str.1@rel64+4
	s_delay_alu instid0(SALU_CYCLE_1) | instskip(SKIP_3) | instid1(SALU_CYCLE_1)
	s_cmp_eq_u64 s[14:15], 0
	s_wait_kmcnt 0x0
	v_cmp_le_i64_e32 vcc_lo, s[6:7], v[2:3]
	s_cselect_b32 s6, -1, 0
	s_or_b32 s6, vcc_lo, s6
	s_delay_alu instid0(SALU_CYCLE_1) | instskip(NEXT) | instid1(SALU_CYCLE_1)
	s_xor_b32 s11, s6, -1
	s_and_saveexec_b32 s7, s11
	s_cbranch_execz .LBB3_6
; %bb.3:
	s_bfe_u32 s11, ttmp6, 0x40010
	s_bfe_u32 s13, ttmp6, 0x40004
	s_add_co_i32 s11, s11, 1
	s_delay_alu instid0(SALU_CYCLE_1) | instskip(NEXT) | instid1(SALU_CYCLE_1)
	s_mul_i32 s11, ttmp7, s11
	s_add_co_i32 s13, s13, s11
	s_cmp_eq_u32 s12, 0
	s_mov_b32 s11, 0
	s_cselect_b32 s12, ttmp7, s13
	s_delay_alu instid0(SALU_CYCLE_1) | instskip(NEXT) | instid1(VALU_DEP_1)
	v_sub_nc_u32_e32 v4, s12, v1
	v_mul_lo_u32 v4, v4, s2
	s_delay_alu instid0(VALU_DEP_1) | instskip(NEXT) | instid1(VALU_DEP_1)
	v_add_lshl_u32 v4, v4, v0, 4
	v_ashrrev_i32_e32 v5, 31, v4
	s_delay_alu instid0(VALU_DEP_1)
	v_cmp_gt_i64_e32 vcc_lo, s[4:5], v[4:5]
	s_and_b32 exec_lo, exec_lo, vcc_lo
	s_cbranch_execz .LBB3_6
; %bb.4:
	s_clause 0x1
	s_load_b128 s[16:19], s[0:1], 0x0
	s_load_b32 s13, s[0:1], 0x4c
	v_mul_lo_u32 v8, v8, s10
	v_dual_lshlrev_b32 v1, 4, v1 :: v_dual_lshlrev_b32 v0, 4, v0
	s_wait_xcnt 0x0
	s_lshl_b32 s0, s12, 4
	s_delay_alu instid0(VALU_DEP_2) | instskip(SKIP_3) | instid1(SALU_CYCLE_1)
	v_ashrrev_i32_e32 v9, 31, v8
	s_wait_kmcnt 0x0
	v_mad_nc_u64_u32 v[6:7], s8, v2, s[16:17]
	s_lshl_b32 s1, s13, 4
	s_add_co_i32 s0, s0, s1
	s_delay_alu instid0(SALU_CYCLE_1) | instskip(SKIP_1) | instid1(SALU_CYCLE_1)
	v_sub_nc_u32_e32 v1, s0, v1
	s_mul_i32 s0, s2, s13
	s_lshl_b32 s0, s0, 4
	s_delay_alu instid0(VALU_DEP_1) | instskip(NEXT) | instid1(VALU_DEP_3)
	v_mad_u32 v0, s2, v1, v0
	v_mad_u32 v2, s9, v2, v7
	s_delay_alu instid0(VALU_DEP_1)
	v_mad_u32 v7, s8, v3, v2
	v_add_nc_u64_e32 v[2:3], s[18:19], v[8:9]
.LBB3_5:                                ; =>This Inner Loop Header: Depth=1
	s_delay_alu instid0(VALU_DEP_1) | instskip(NEXT) | instid1(VALU_DEP_3)
	v_add_nc_u64_e32 v[8:9], v[2:3], v[4:5]
	v_add_nc_u64_e32 v[4:5], v[6:7], v[4:5]
	s_delay_alu instid0(VALU_DEP_3) | instskip(NEXT) | instid1(VALU_DEP_1)
	v_ashrrev_i32_e32 v1, 31, v0
	v_cmp_le_i64_e32 vcc_lo, s[4:5], v[0:1]
	global_load_b128 v[8:11], v[8:9], off
	s_wait_xcnt 0x0
	s_wait_loadcnt 0x0
	global_atomic_add_f32 v[4:5], v8, off scope:SCOPE_DEV
	s_wait_xcnt 0x0
	global_atomic_add_f32 v[4:5], v9, off offset:4 scope:SCOPE_DEV
	s_wait_xcnt 0x0
	global_atomic_add_f32 v[4:5], v10, off offset:8 scope:SCOPE_DEV
	;; [unrolled: 2-line block ×3, first 2 shown]
	s_wait_xcnt 0x0
	v_mov_b64_e32 v[4:5], v[0:1]
	v_add_nc_u32_e32 v0, s0, v0
	s_or_b32 s11, vcc_lo, s11
	s_delay_alu instid0(SALU_CYCLE_1)
	s_and_not1_b32 exec_lo, exec_lo, s11
	s_cbranch_execnz .LBB3_5
.LBB3_6:
	s_or_b32 exec_lo, exec_lo, s7
	s_delay_alu instid0(SALU_CYCLE_1)
	s_or_not1_b32 s4, s6, exec_lo
.LBB3_7:
	s_or_b32 exec_lo, exec_lo, s3
	s_delay_alu instid0(SALU_CYCLE_1)
	s_and_b32 exec_lo, exec_lo, s4
	s_cbranch_execnz .LBB3_9
.LBB3_8:
	s_endpgm
.LBB3_9:
	s_trap 2
	; divergent unreachable
	s_endpgm
	.section	.rodata,"a",@progbits
	.p2align	6, 0x0
	.amdhsa_kernel _ZN2at6native29vectorized_scatter_add_kernelILi16EfiEEvPT0_PKS2_PKT1_illllii
		.amdhsa_group_segment_fixed_size 0
		.amdhsa_private_segment_fixed_size 0
		.amdhsa_kernarg_size 328
		.amdhsa_user_sgpr_count 2
		.amdhsa_user_sgpr_dispatch_ptr 0
		.amdhsa_user_sgpr_queue_ptr 0
		.amdhsa_user_sgpr_kernarg_segment_ptr 1
		.amdhsa_user_sgpr_dispatch_id 0
		.amdhsa_user_sgpr_kernarg_preload_length 0
		.amdhsa_user_sgpr_kernarg_preload_offset 0
		.amdhsa_user_sgpr_private_segment_size 0
		.amdhsa_wavefront_size32 1
		.amdhsa_uses_dynamic_stack 0
		.amdhsa_enable_private_segment 0
		.amdhsa_system_sgpr_workgroup_id_x 1
		.amdhsa_system_sgpr_workgroup_id_y 1
		.amdhsa_system_sgpr_workgroup_id_z 0
		.amdhsa_system_sgpr_workgroup_info 0
		.amdhsa_system_vgpr_workitem_id 0
		.amdhsa_next_free_vgpr 12
		.amdhsa_next_free_sgpr 20
		.amdhsa_named_barrier_count 0
		.amdhsa_reserve_vcc 1
		.amdhsa_float_round_mode_32 0
		.amdhsa_float_round_mode_16_64 0
		.amdhsa_float_denorm_mode_32 3
		.amdhsa_float_denorm_mode_16_64 3
		.amdhsa_fp16_overflow 0
		.amdhsa_memory_ordered 1
		.amdhsa_forward_progress 1
		.amdhsa_inst_pref_size 6
		.amdhsa_round_robin_scheduling 0
		.amdhsa_exception_fp_ieee_invalid_op 0
		.amdhsa_exception_fp_denorm_src 0
		.amdhsa_exception_fp_ieee_div_zero 0
		.amdhsa_exception_fp_ieee_overflow 0
		.amdhsa_exception_fp_ieee_underflow 0
		.amdhsa_exception_fp_ieee_inexact 0
		.amdhsa_exception_int_div_zero 0
	.end_amdhsa_kernel
	.section	.text._ZN2at6native29vectorized_scatter_add_kernelILi16EfiEEvPT0_PKS2_PKT1_illllii,"axG",@progbits,_ZN2at6native29vectorized_scatter_add_kernelILi16EfiEEvPT0_PKS2_PKT1_illllii,comdat
.Lfunc_end3:
	.size	_ZN2at6native29vectorized_scatter_add_kernelILi16EfiEEvPT0_PKS2_PKT1_illllii, .Lfunc_end3-_ZN2at6native29vectorized_scatter_add_kernelILi16EfiEEvPT0_PKS2_PKT1_illllii
                                        ; -- End function
	.set _ZN2at6native29vectorized_scatter_add_kernelILi16EfiEEvPT0_PKS2_PKT1_illllii.num_vgpr, 12
	.set _ZN2at6native29vectorized_scatter_add_kernelILi16EfiEEvPT0_PKS2_PKT1_illllii.num_agpr, 0
	.set _ZN2at6native29vectorized_scatter_add_kernelILi16EfiEEvPT0_PKS2_PKT1_illllii.numbered_sgpr, 20
	.set _ZN2at6native29vectorized_scatter_add_kernelILi16EfiEEvPT0_PKS2_PKT1_illllii.num_named_barrier, 0
	.set _ZN2at6native29vectorized_scatter_add_kernelILi16EfiEEvPT0_PKS2_PKT1_illllii.private_seg_size, 0
	.set _ZN2at6native29vectorized_scatter_add_kernelILi16EfiEEvPT0_PKS2_PKT1_illllii.uses_vcc, 1
	.set _ZN2at6native29vectorized_scatter_add_kernelILi16EfiEEvPT0_PKS2_PKT1_illllii.uses_flat_scratch, 0
	.set _ZN2at6native29vectorized_scatter_add_kernelILi16EfiEEvPT0_PKS2_PKT1_illllii.has_dyn_sized_stack, 0
	.set _ZN2at6native29vectorized_scatter_add_kernelILi16EfiEEvPT0_PKS2_PKT1_illllii.has_recursion, 0
	.set _ZN2at6native29vectorized_scatter_add_kernelILi16EfiEEvPT0_PKS2_PKT1_illllii.has_indirect_call, 0
	.section	.AMDGPU.csdata,"",@progbits
; Kernel info:
; codeLenInByte = 728
; TotalNumSgprs: 22
; NumVgprs: 12
; ScratchSize: 0
; MemoryBound: 0
; FloatMode: 240
; IeeeMode: 1
; LDSByteSize: 0 bytes/workgroup (compile time only)
; SGPRBlocks: 0
; VGPRBlocks: 0
; NumSGPRsForWavesPerEU: 22
; NumVGPRsForWavesPerEU: 12
; NamedBarCnt: 0
; Occupancy: 16
; WaveLimiterHint : 1
; COMPUTE_PGM_RSRC2:SCRATCH_EN: 0
; COMPUTE_PGM_RSRC2:USER_SGPR: 2
; COMPUTE_PGM_RSRC2:TRAP_HANDLER: 0
; COMPUTE_PGM_RSRC2:TGID_X_EN: 1
; COMPUTE_PGM_RSRC2:TGID_Y_EN: 1
; COMPUTE_PGM_RSRC2:TGID_Z_EN: 0
; COMPUTE_PGM_RSRC2:TIDIG_COMP_CNT: 0
	.section	.text._ZN2at6native29vectorized_scatter_add_kernelILi16EdlEEvPT0_PKS2_PKT1_illllii,"axG",@progbits,_ZN2at6native29vectorized_scatter_add_kernelILi16EdlEEvPT0_PKS2_PKT1_illllii,comdat
	.protected	_ZN2at6native29vectorized_scatter_add_kernelILi16EdlEEvPT0_PKS2_PKT1_illllii ; -- Begin function _ZN2at6native29vectorized_scatter_add_kernelILi16EdlEEvPT0_PKS2_PKT1_illllii
	.globl	_ZN2at6native29vectorized_scatter_add_kernelILi16EdlEEvPT0_PKS2_PKT1_illllii
	.p2align	8
	.type	_ZN2at6native29vectorized_scatter_add_kernelILi16EdlEEvPT0_PKS2_PKT1_illllii,@function
_ZN2at6native29vectorized_scatter_add_kernelILi16EdlEEvPT0_PKS2_PKT1_illllii: ; @_ZN2at6native29vectorized_scatter_add_kernelILi16EdlEEvPT0_PKS2_PKT1_illllii
; %bb.0:
	s_load_b64 s[2:3], s[0:1], 0x40
	s_bfe_u32 s6, ttmp6, 0x4000c
	s_getreg_b32 s12, hwreg(HW_REG_IB_STS2, 6, 4)
	s_add_co_i32 s6, s6, 1
	s_delay_alu instid0(SALU_CYCLE_1) | instskip(SKIP_3) | instid1(SALU_CYCLE_2)
	s_mul_i32 s6, ttmp9, s6
	s_wait_kmcnt 0x0
	s_cvt_f32_u32 s4, s2
	s_sub_co_i32 s5, 0, s2
	v_rcp_iflag_f32_e32 v1, s4
	v_nop
	s_delay_alu instid0(TRANS32_DEP_1) | instskip(SKIP_1) | instid1(SALU_CYCLE_3)
	v_readfirstlane_b32 s4, v1
	s_mul_f32 s4, s4, 0x4f7ffffe
	s_cvt_u32_f32 s4, s4
	s_delay_alu instid0(SALU_CYCLE_3) | instskip(NEXT) | instid1(SALU_CYCLE_1)
	s_mul_i32 s5, s5, s4
	s_mul_hi_u32 s5, s4, s5
	s_delay_alu instid0(SALU_CYCLE_1)
	s_add_co_i32 s4, s4, s5
	s_and_b32 s5, ttmp6, 15
	v_mul_hi_u32 v1, v0, s4
	s_load_b32 s4, s[0:1], 0x18
	s_add_co_i32 s5, s5, s6
	s_cmp_eq_u32 s12, 0
	s_cselect_b32 s5, ttmp9, s5
	s_delay_alu instid0(VALU_DEP_1) | instskip(NEXT) | instid1(VALU_DEP_1)
	v_mul_lo_u32 v2, v1, s2
	v_dual_add_nc_u32 v3, 1, v1 :: v_dual_sub_nc_u32 v2, v0, v2
	s_delay_alu instid0(VALU_DEP_1) | instskip(SKIP_1) | instid1(VALU_DEP_2)
	v_subrev_nc_u32_e32 v4, s2, v2
	v_cmp_le_u32_e32 vcc_lo, s2, v2
	v_dual_cndmask_b32 v1, v1, v3 :: v_dual_cndmask_b32 v2, v2, v4
	s_delay_alu instid0(VALU_DEP_1) | instskip(NEXT) | instid1(VALU_DEP_2)
	v_add_nc_u32_e32 v3, 1, v1
	v_cmp_le_u32_e32 vcc_lo, s2, v2
	s_delay_alu instid0(VALU_DEP_2) | instskip(NEXT) | instid1(VALU_DEP_1)
	v_cndmask_b32_e32 v1, v1, v3, vcc_lo
	v_mad_u32 v8, s3, s5, v1
	s_mov_b32 s3, exec_lo
	s_wait_kmcnt 0x0
	s_delay_alu instid0(VALU_DEP_1)
	v_cmpx_gt_i32_e64 s4, v8
	s_cbranch_execz .LBB4_8
; %bb.1:
	s_load_b64 s[4:5], s[0:1], 0x10
	s_mov_b32 s3, exec_lo
	s_wait_kmcnt 0x0
	global_load_b64 v[2:3], v8, s[4:5] scale_offset
	s_wait_xcnt 0x0
	s_mov_b32 s4, -1
	s_wait_loadcnt 0x0
	v_cmpx_lt_i64_e32 -1, v[2:3]
	s_cbranch_execz .LBB4_7
; %bb.2:
	s_load_b256 s[4:11], s[0:1], 0x20
	s_get_pc_i64 s[14:15]
	s_add_nc_u64 s[14:15], s[14:15], .str.1@rel64+4
	s_delay_alu instid0(SALU_CYCLE_1) | instskip(SKIP_3) | instid1(SALU_CYCLE_1)
	s_cmp_eq_u64 s[14:15], 0
	s_wait_kmcnt 0x0
	v_cmp_le_i64_e32 vcc_lo, s[6:7], v[2:3]
	s_cselect_b32 s6, -1, 0
	s_or_b32 s6, vcc_lo, s6
	s_delay_alu instid0(SALU_CYCLE_1) | instskip(NEXT) | instid1(SALU_CYCLE_1)
	s_xor_b32 s11, s6, -1
	s_and_saveexec_b32 s7, s11
	s_cbranch_execz .LBB4_6
; %bb.3:
	s_bfe_u32 s11, ttmp6, 0x40010
	s_bfe_u32 s13, ttmp6, 0x40004
	s_add_co_i32 s11, s11, 1
	s_delay_alu instid0(SALU_CYCLE_1) | instskip(NEXT) | instid1(SALU_CYCLE_1)
	s_mul_i32 s11, ttmp7, s11
	s_add_co_i32 s13, s13, s11
	s_cmp_eq_u32 s12, 0
	s_mov_b32 s11, 0
	s_cselect_b32 s12, ttmp7, s13
	s_delay_alu instid0(SALU_CYCLE_1) | instskip(NEXT) | instid1(VALU_DEP_1)
	v_sub_nc_u32_e32 v4, s12, v1
	v_mul_lo_u32 v4, v4, s2
	s_delay_alu instid0(VALU_DEP_1) | instskip(NEXT) | instid1(VALU_DEP_1)
	v_add_lshl_u32 v4, v4, v0, 4
	v_ashrrev_i32_e32 v5, 31, v4
	s_delay_alu instid0(VALU_DEP_1)
	v_cmp_gt_i64_e32 vcc_lo, s[4:5], v[4:5]
	s_and_b32 exec_lo, exec_lo, vcc_lo
	s_cbranch_execz .LBB4_6
; %bb.4:
	s_clause 0x1
	s_load_b128 s[16:19], s[0:1], 0x0
	s_load_b32 s13, s[0:1], 0x4c
	v_mul_lo_u32 v8, v8, s10
	v_dual_lshlrev_b32 v1, 4, v1 :: v_dual_lshlrev_b32 v0, 4, v0
	s_wait_xcnt 0x0
	s_lshl_b32 s0, s12, 4
	s_delay_alu instid0(VALU_DEP_2) | instskip(SKIP_3) | instid1(SALU_CYCLE_1)
	v_ashrrev_i32_e32 v9, 31, v8
	s_wait_kmcnt 0x0
	v_mad_nc_u64_u32 v[6:7], v2, s8, s[16:17]
	s_lshl_b32 s1, s13, 4
	s_add_co_i32 s0, s0, s1
	s_delay_alu instid0(SALU_CYCLE_1) | instskip(SKIP_1) | instid1(SALU_CYCLE_1)
	v_sub_nc_u32_e32 v1, s0, v1
	s_mul_i32 s0, s2, s13
	s_lshl_b32 s0, s0, 4
	s_delay_alu instid0(VALU_DEP_1) | instskip(NEXT) | instid1(VALU_DEP_3)
	v_mad_u32 v0, s2, v1, v0
	v_mad_u32 v3, v3, s8, v7
	s_delay_alu instid0(VALU_DEP_1)
	v_mad_u32 v7, v2, s9, v3
	v_add_nc_u64_e32 v[2:3], s[18:19], v[8:9]
.LBB4_5:                                ; =>This Inner Loop Header: Depth=1
	s_delay_alu instid0(VALU_DEP_1) | instskip(NEXT) | instid1(VALU_DEP_3)
	v_add_nc_u64_e32 v[8:9], v[2:3], v[4:5]
	v_add_nc_u64_e32 v[4:5], v[6:7], v[4:5]
	s_delay_alu instid0(VALU_DEP_3) | instskip(NEXT) | instid1(VALU_DEP_1)
	v_ashrrev_i32_e32 v1, 31, v0
	v_cmp_le_i64_e32 vcc_lo, s[4:5], v[0:1]
	global_load_b128 v[8:11], v[8:9], off
	s_wait_xcnt 0x0
	s_wait_loadcnt 0x0
	global_atomic_add_f64 v[4:5], v[8:9], off scope:SCOPE_DEV
	s_wait_xcnt 0x0
	global_atomic_add_f64 v[4:5], v[10:11], off offset:8 scope:SCOPE_DEV
	s_wait_xcnt 0x0
	v_mov_b64_e32 v[4:5], v[0:1]
	v_add_nc_u32_e32 v0, s0, v0
	s_or_b32 s11, vcc_lo, s11
	s_delay_alu instid0(SALU_CYCLE_1)
	s_and_not1_b32 exec_lo, exec_lo, s11
	s_cbranch_execnz .LBB4_5
.LBB4_6:
	s_or_b32 exec_lo, exec_lo, s7
	s_delay_alu instid0(SALU_CYCLE_1)
	s_or_not1_b32 s4, s6, exec_lo
.LBB4_7:
	s_or_b32 exec_lo, exec_lo, s3
	s_delay_alu instid0(SALU_CYCLE_1)
	s_and_b32 exec_lo, exec_lo, s4
	s_cbranch_execnz .LBB4_9
.LBB4_8:
	s_endpgm
.LBB4_9:
	s_trap 2
	; divergent unreachable
	s_endpgm
	.section	.rodata,"a",@progbits
	.p2align	6, 0x0
	.amdhsa_kernel _ZN2at6native29vectorized_scatter_add_kernelILi16EdlEEvPT0_PKS2_PKT1_illllii
		.amdhsa_group_segment_fixed_size 0
		.amdhsa_private_segment_fixed_size 0
		.amdhsa_kernarg_size 328
		.amdhsa_user_sgpr_count 2
		.amdhsa_user_sgpr_dispatch_ptr 0
		.amdhsa_user_sgpr_queue_ptr 0
		.amdhsa_user_sgpr_kernarg_segment_ptr 1
		.amdhsa_user_sgpr_dispatch_id 0
		.amdhsa_user_sgpr_kernarg_preload_length 0
		.amdhsa_user_sgpr_kernarg_preload_offset 0
		.amdhsa_user_sgpr_private_segment_size 0
		.amdhsa_wavefront_size32 1
		.amdhsa_uses_dynamic_stack 0
		.amdhsa_enable_private_segment 0
		.amdhsa_system_sgpr_workgroup_id_x 1
		.amdhsa_system_sgpr_workgroup_id_y 1
		.amdhsa_system_sgpr_workgroup_id_z 0
		.amdhsa_system_sgpr_workgroup_info 0
		.amdhsa_system_vgpr_workitem_id 0
		.amdhsa_next_free_vgpr 12
		.amdhsa_next_free_sgpr 20
		.amdhsa_named_barrier_count 0
		.amdhsa_reserve_vcc 1
		.amdhsa_float_round_mode_32 0
		.amdhsa_float_round_mode_16_64 0
		.amdhsa_float_denorm_mode_32 3
		.amdhsa_float_denorm_mode_16_64 3
		.amdhsa_fp16_overflow 0
		.amdhsa_memory_ordered 1
		.amdhsa_forward_progress 1
		.amdhsa_inst_pref_size 6
		.amdhsa_round_robin_scheduling 0
		.amdhsa_exception_fp_ieee_invalid_op 0
		.amdhsa_exception_fp_denorm_src 0
		.amdhsa_exception_fp_ieee_div_zero 0
		.amdhsa_exception_fp_ieee_overflow 0
		.amdhsa_exception_fp_ieee_underflow 0
		.amdhsa_exception_fp_ieee_inexact 0
		.amdhsa_exception_int_div_zero 0
	.end_amdhsa_kernel
	.section	.text._ZN2at6native29vectorized_scatter_add_kernelILi16EdlEEvPT0_PKS2_PKT1_illllii,"axG",@progbits,_ZN2at6native29vectorized_scatter_add_kernelILi16EdlEEvPT0_PKS2_PKT1_illllii,comdat
.Lfunc_end4:
	.size	_ZN2at6native29vectorized_scatter_add_kernelILi16EdlEEvPT0_PKS2_PKT1_illllii, .Lfunc_end4-_ZN2at6native29vectorized_scatter_add_kernelILi16EdlEEvPT0_PKS2_PKT1_illllii
                                        ; -- End function
	.set _ZN2at6native29vectorized_scatter_add_kernelILi16EdlEEvPT0_PKS2_PKT1_illllii.num_vgpr, 12
	.set _ZN2at6native29vectorized_scatter_add_kernelILi16EdlEEvPT0_PKS2_PKT1_illllii.num_agpr, 0
	.set _ZN2at6native29vectorized_scatter_add_kernelILi16EdlEEvPT0_PKS2_PKT1_illllii.numbered_sgpr, 20
	.set _ZN2at6native29vectorized_scatter_add_kernelILi16EdlEEvPT0_PKS2_PKT1_illllii.num_named_barrier, 0
	.set _ZN2at6native29vectorized_scatter_add_kernelILi16EdlEEvPT0_PKS2_PKT1_illllii.private_seg_size, 0
	.set _ZN2at6native29vectorized_scatter_add_kernelILi16EdlEEvPT0_PKS2_PKT1_illllii.uses_vcc, 1
	.set _ZN2at6native29vectorized_scatter_add_kernelILi16EdlEEvPT0_PKS2_PKT1_illllii.uses_flat_scratch, 0
	.set _ZN2at6native29vectorized_scatter_add_kernelILi16EdlEEvPT0_PKS2_PKT1_illllii.has_dyn_sized_stack, 0
	.set _ZN2at6native29vectorized_scatter_add_kernelILi16EdlEEvPT0_PKS2_PKT1_illllii.has_recursion, 0
	.set _ZN2at6native29vectorized_scatter_add_kernelILi16EdlEEvPT0_PKS2_PKT1_illllii.has_indirect_call, 0
	.section	.AMDGPU.csdata,"",@progbits
; Kernel info:
; codeLenInByte = 692
; TotalNumSgprs: 22
; NumVgprs: 12
; ScratchSize: 0
; MemoryBound: 0
; FloatMode: 240
; IeeeMode: 1
; LDSByteSize: 0 bytes/workgroup (compile time only)
; SGPRBlocks: 0
; VGPRBlocks: 0
; NumSGPRsForWavesPerEU: 22
; NumVGPRsForWavesPerEU: 12
; NamedBarCnt: 0
; Occupancy: 16
; WaveLimiterHint : 1
; COMPUTE_PGM_RSRC2:SCRATCH_EN: 0
; COMPUTE_PGM_RSRC2:USER_SGPR: 2
; COMPUTE_PGM_RSRC2:TRAP_HANDLER: 0
; COMPUTE_PGM_RSRC2:TGID_X_EN: 1
; COMPUTE_PGM_RSRC2:TGID_Y_EN: 1
; COMPUTE_PGM_RSRC2:TGID_Z_EN: 0
; COMPUTE_PGM_RSRC2:TIDIG_COMP_CNT: 0
	.section	.text._ZN2at6native29vectorized_scatter_add_kernelILi16EdiEEvPT0_PKS2_PKT1_illllii,"axG",@progbits,_ZN2at6native29vectorized_scatter_add_kernelILi16EdiEEvPT0_PKS2_PKT1_illllii,comdat
	.protected	_ZN2at6native29vectorized_scatter_add_kernelILi16EdiEEvPT0_PKS2_PKT1_illllii ; -- Begin function _ZN2at6native29vectorized_scatter_add_kernelILi16EdiEEvPT0_PKS2_PKT1_illllii
	.globl	_ZN2at6native29vectorized_scatter_add_kernelILi16EdiEEvPT0_PKS2_PKT1_illllii
	.p2align	8
	.type	_ZN2at6native29vectorized_scatter_add_kernelILi16EdiEEvPT0_PKS2_PKT1_illllii,@function
_ZN2at6native29vectorized_scatter_add_kernelILi16EdiEEvPT0_PKS2_PKT1_illllii: ; @_ZN2at6native29vectorized_scatter_add_kernelILi16EdiEEvPT0_PKS2_PKT1_illllii
; %bb.0:
	s_load_b64 s[2:3], s[0:1], 0x40
	s_bfe_u32 s6, ttmp6, 0x4000c
	s_getreg_b32 s12, hwreg(HW_REG_IB_STS2, 6, 4)
	s_add_co_i32 s6, s6, 1
	s_delay_alu instid0(SALU_CYCLE_1) | instskip(SKIP_3) | instid1(SALU_CYCLE_2)
	s_mul_i32 s6, ttmp9, s6
	s_wait_kmcnt 0x0
	s_cvt_f32_u32 s4, s2
	s_sub_co_i32 s5, 0, s2
	v_rcp_iflag_f32_e32 v1, s4
	v_nop
	s_delay_alu instid0(TRANS32_DEP_1) | instskip(SKIP_1) | instid1(SALU_CYCLE_3)
	v_readfirstlane_b32 s4, v1
	s_mul_f32 s4, s4, 0x4f7ffffe
	s_cvt_u32_f32 s4, s4
	s_delay_alu instid0(SALU_CYCLE_3) | instskip(NEXT) | instid1(SALU_CYCLE_1)
	s_mul_i32 s5, s5, s4
	s_mul_hi_u32 s5, s4, s5
	s_delay_alu instid0(SALU_CYCLE_1)
	s_add_co_i32 s4, s4, s5
	s_and_b32 s5, ttmp6, 15
	v_mul_hi_u32 v1, v0, s4
	s_load_b32 s4, s[0:1], 0x18
	s_add_co_i32 s5, s5, s6
	s_cmp_eq_u32 s12, 0
	s_cselect_b32 s5, ttmp9, s5
	s_delay_alu instid0(VALU_DEP_1) | instskip(NEXT) | instid1(VALU_DEP_1)
	v_mul_lo_u32 v2, v1, s2
	v_dual_add_nc_u32 v3, 1, v1 :: v_dual_sub_nc_u32 v2, v0, v2
	s_delay_alu instid0(VALU_DEP_1) | instskip(SKIP_1) | instid1(VALU_DEP_2)
	v_subrev_nc_u32_e32 v4, s2, v2
	v_cmp_le_u32_e32 vcc_lo, s2, v2
	v_dual_cndmask_b32 v1, v1, v3 :: v_dual_cndmask_b32 v2, v2, v4
	s_delay_alu instid0(VALU_DEP_1) | instskip(NEXT) | instid1(VALU_DEP_2)
	v_add_nc_u32_e32 v3, 1, v1
	v_cmp_le_u32_e32 vcc_lo, s2, v2
	s_delay_alu instid0(VALU_DEP_2) | instskip(NEXT) | instid1(VALU_DEP_1)
	v_cndmask_b32_e32 v1, v1, v3, vcc_lo
	v_mad_u32 v8, s3, s5, v1
	s_mov_b32 s3, exec_lo
	s_wait_kmcnt 0x0
	s_delay_alu instid0(VALU_DEP_1)
	v_cmpx_gt_i32_e64 s4, v8
	s_cbranch_execz .LBB5_8
; %bb.1:
	s_load_b64 s[4:5], s[0:1], 0x10
	s_mov_b32 s3, exec_lo
	s_wait_kmcnt 0x0
	global_load_b32 v2, v8, s[4:5] scale_offset
	s_wait_xcnt 0x0
	s_mov_b32 s4, -1
	s_wait_loadcnt 0x0
	v_cmpx_lt_i32_e32 -1, v2
	s_cbranch_execz .LBB5_7
; %bb.2:
	s_load_b256 s[4:11], s[0:1], 0x20
	v_ashrrev_i32_e32 v3, 31, v2
	s_get_pc_i64 s[14:15]
	s_add_nc_u64 s[14:15], s[14:15], .str.1@rel64+4
	s_delay_alu instid0(SALU_CYCLE_1) | instskip(SKIP_3) | instid1(SALU_CYCLE_1)
	s_cmp_eq_u64 s[14:15], 0
	s_wait_kmcnt 0x0
	v_cmp_le_i64_e32 vcc_lo, s[6:7], v[2:3]
	s_cselect_b32 s6, -1, 0
	s_or_b32 s6, vcc_lo, s6
	s_delay_alu instid0(SALU_CYCLE_1) | instskip(NEXT) | instid1(SALU_CYCLE_1)
	s_xor_b32 s11, s6, -1
	s_and_saveexec_b32 s7, s11
	s_cbranch_execz .LBB5_6
; %bb.3:
	s_bfe_u32 s11, ttmp6, 0x40010
	s_bfe_u32 s13, ttmp6, 0x40004
	s_add_co_i32 s11, s11, 1
	s_delay_alu instid0(SALU_CYCLE_1) | instskip(NEXT) | instid1(SALU_CYCLE_1)
	s_mul_i32 s11, ttmp7, s11
	s_add_co_i32 s13, s13, s11
	s_cmp_eq_u32 s12, 0
	s_mov_b32 s11, 0
	s_cselect_b32 s12, ttmp7, s13
	s_delay_alu instid0(SALU_CYCLE_1) | instskip(NEXT) | instid1(VALU_DEP_1)
	v_sub_nc_u32_e32 v4, s12, v1
	v_mul_lo_u32 v4, v4, s2
	s_delay_alu instid0(VALU_DEP_1) | instskip(NEXT) | instid1(VALU_DEP_1)
	v_add_lshl_u32 v4, v4, v0, 4
	v_ashrrev_i32_e32 v5, 31, v4
	s_delay_alu instid0(VALU_DEP_1)
	v_cmp_gt_i64_e32 vcc_lo, s[4:5], v[4:5]
	s_and_b32 exec_lo, exec_lo, vcc_lo
	s_cbranch_execz .LBB5_6
; %bb.4:
	s_clause 0x1
	s_load_b128 s[16:19], s[0:1], 0x0
	s_load_b32 s13, s[0:1], 0x4c
	v_mul_lo_u32 v8, v8, s10
	v_dual_lshlrev_b32 v1, 4, v1 :: v_dual_lshlrev_b32 v0, 4, v0
	s_wait_xcnt 0x0
	s_lshl_b32 s0, s12, 4
	s_delay_alu instid0(VALU_DEP_2) | instskip(SKIP_3) | instid1(SALU_CYCLE_1)
	v_ashrrev_i32_e32 v9, 31, v8
	s_wait_kmcnt 0x0
	v_mad_nc_u64_u32 v[6:7], s8, v2, s[16:17]
	s_lshl_b32 s1, s13, 4
	s_add_co_i32 s0, s0, s1
	s_delay_alu instid0(SALU_CYCLE_1) | instskip(SKIP_1) | instid1(SALU_CYCLE_1)
	v_sub_nc_u32_e32 v1, s0, v1
	s_mul_i32 s0, s2, s13
	s_lshl_b32 s0, s0, 4
	s_delay_alu instid0(VALU_DEP_1) | instskip(NEXT) | instid1(VALU_DEP_3)
	v_mad_u32 v0, s2, v1, v0
	v_mad_u32 v2, s9, v2, v7
	s_delay_alu instid0(VALU_DEP_1)
	v_mad_u32 v7, s8, v3, v2
	v_add_nc_u64_e32 v[2:3], s[18:19], v[8:9]
.LBB5_5:                                ; =>This Inner Loop Header: Depth=1
	s_delay_alu instid0(VALU_DEP_1) | instskip(NEXT) | instid1(VALU_DEP_3)
	v_add_nc_u64_e32 v[8:9], v[2:3], v[4:5]
	v_add_nc_u64_e32 v[4:5], v[6:7], v[4:5]
	s_delay_alu instid0(VALU_DEP_3) | instskip(NEXT) | instid1(VALU_DEP_1)
	v_ashrrev_i32_e32 v1, 31, v0
	v_cmp_le_i64_e32 vcc_lo, s[4:5], v[0:1]
	global_load_b128 v[8:11], v[8:9], off
	s_wait_xcnt 0x0
	s_wait_loadcnt 0x0
	global_atomic_add_f64 v[4:5], v[8:9], off scope:SCOPE_DEV
	s_wait_xcnt 0x0
	global_atomic_add_f64 v[4:5], v[10:11], off offset:8 scope:SCOPE_DEV
	s_wait_xcnt 0x0
	v_mov_b64_e32 v[4:5], v[0:1]
	v_add_nc_u32_e32 v0, s0, v0
	s_or_b32 s11, vcc_lo, s11
	s_delay_alu instid0(SALU_CYCLE_1)
	s_and_not1_b32 exec_lo, exec_lo, s11
	s_cbranch_execnz .LBB5_5
.LBB5_6:
	s_or_b32 exec_lo, exec_lo, s7
	s_delay_alu instid0(SALU_CYCLE_1)
	s_or_not1_b32 s4, s6, exec_lo
.LBB5_7:
	s_or_b32 exec_lo, exec_lo, s3
	s_delay_alu instid0(SALU_CYCLE_1)
	s_and_b32 exec_lo, exec_lo, s4
	s_cbranch_execnz .LBB5_9
.LBB5_8:
	s_endpgm
.LBB5_9:
	s_trap 2
	; divergent unreachable
	s_endpgm
	.section	.rodata,"a",@progbits
	.p2align	6, 0x0
	.amdhsa_kernel _ZN2at6native29vectorized_scatter_add_kernelILi16EdiEEvPT0_PKS2_PKT1_illllii
		.amdhsa_group_segment_fixed_size 0
		.amdhsa_private_segment_fixed_size 0
		.amdhsa_kernarg_size 328
		.amdhsa_user_sgpr_count 2
		.amdhsa_user_sgpr_dispatch_ptr 0
		.amdhsa_user_sgpr_queue_ptr 0
		.amdhsa_user_sgpr_kernarg_segment_ptr 1
		.amdhsa_user_sgpr_dispatch_id 0
		.amdhsa_user_sgpr_kernarg_preload_length 0
		.amdhsa_user_sgpr_kernarg_preload_offset 0
		.amdhsa_user_sgpr_private_segment_size 0
		.amdhsa_wavefront_size32 1
		.amdhsa_uses_dynamic_stack 0
		.amdhsa_enable_private_segment 0
		.amdhsa_system_sgpr_workgroup_id_x 1
		.amdhsa_system_sgpr_workgroup_id_y 1
		.amdhsa_system_sgpr_workgroup_id_z 0
		.amdhsa_system_sgpr_workgroup_info 0
		.amdhsa_system_vgpr_workitem_id 0
		.amdhsa_next_free_vgpr 12
		.amdhsa_next_free_sgpr 20
		.amdhsa_named_barrier_count 0
		.amdhsa_reserve_vcc 1
		.amdhsa_float_round_mode_32 0
		.amdhsa_float_round_mode_16_64 0
		.amdhsa_float_denorm_mode_32 3
		.amdhsa_float_denorm_mode_16_64 3
		.amdhsa_fp16_overflow 0
		.amdhsa_memory_ordered 1
		.amdhsa_forward_progress 1
		.amdhsa_inst_pref_size 6
		.amdhsa_round_robin_scheduling 0
		.amdhsa_exception_fp_ieee_invalid_op 0
		.amdhsa_exception_fp_denorm_src 0
		.amdhsa_exception_fp_ieee_div_zero 0
		.amdhsa_exception_fp_ieee_overflow 0
		.amdhsa_exception_fp_ieee_underflow 0
		.amdhsa_exception_fp_ieee_inexact 0
		.amdhsa_exception_int_div_zero 0
	.end_amdhsa_kernel
	.section	.text._ZN2at6native29vectorized_scatter_add_kernelILi16EdiEEvPT0_PKS2_PKT1_illllii,"axG",@progbits,_ZN2at6native29vectorized_scatter_add_kernelILi16EdiEEvPT0_PKS2_PKT1_illllii,comdat
.Lfunc_end5:
	.size	_ZN2at6native29vectorized_scatter_add_kernelILi16EdiEEvPT0_PKS2_PKT1_illllii, .Lfunc_end5-_ZN2at6native29vectorized_scatter_add_kernelILi16EdiEEvPT0_PKS2_PKT1_illllii
                                        ; -- End function
	.set _ZN2at6native29vectorized_scatter_add_kernelILi16EdiEEvPT0_PKS2_PKT1_illllii.num_vgpr, 12
	.set _ZN2at6native29vectorized_scatter_add_kernelILi16EdiEEvPT0_PKS2_PKT1_illllii.num_agpr, 0
	.set _ZN2at6native29vectorized_scatter_add_kernelILi16EdiEEvPT0_PKS2_PKT1_illllii.numbered_sgpr, 20
	.set _ZN2at6native29vectorized_scatter_add_kernelILi16EdiEEvPT0_PKS2_PKT1_illllii.num_named_barrier, 0
	.set _ZN2at6native29vectorized_scatter_add_kernelILi16EdiEEvPT0_PKS2_PKT1_illllii.private_seg_size, 0
	.set _ZN2at6native29vectorized_scatter_add_kernelILi16EdiEEvPT0_PKS2_PKT1_illllii.uses_vcc, 1
	.set _ZN2at6native29vectorized_scatter_add_kernelILi16EdiEEvPT0_PKS2_PKT1_illllii.uses_flat_scratch, 0
	.set _ZN2at6native29vectorized_scatter_add_kernelILi16EdiEEvPT0_PKS2_PKT1_illllii.has_dyn_sized_stack, 0
	.set _ZN2at6native29vectorized_scatter_add_kernelILi16EdiEEvPT0_PKS2_PKT1_illllii.has_recursion, 0
	.set _ZN2at6native29vectorized_scatter_add_kernelILi16EdiEEvPT0_PKS2_PKT1_illllii.has_indirect_call, 0
	.section	.AMDGPU.csdata,"",@progbits
; Kernel info:
; codeLenInByte = 696
; TotalNumSgprs: 22
; NumVgprs: 12
; ScratchSize: 0
; MemoryBound: 0
; FloatMode: 240
; IeeeMode: 1
; LDSByteSize: 0 bytes/workgroup (compile time only)
; SGPRBlocks: 0
; VGPRBlocks: 0
; NumSGPRsForWavesPerEU: 22
; NumVGPRsForWavesPerEU: 12
; NamedBarCnt: 0
; Occupancy: 16
; WaveLimiterHint : 1
; COMPUTE_PGM_RSRC2:SCRATCH_EN: 0
; COMPUTE_PGM_RSRC2:USER_SGPR: 2
; COMPUTE_PGM_RSRC2:TRAP_HANDLER: 0
; COMPUTE_PGM_RSRC2:TGID_X_EN: 1
; COMPUTE_PGM_RSRC2:TGID_Y_EN: 1
; COMPUTE_PGM_RSRC2:TGID_Z_EN: 0
; COMPUTE_PGM_RSRC2:TIDIG_COMP_CNT: 0
	.section	.text._ZN2at6native29vectorized_scatter_add_kernelILi16EN3c104HalfElEEvPT0_PKS4_PKT1_illllii,"axG",@progbits,_ZN2at6native29vectorized_scatter_add_kernelILi16EN3c104HalfElEEvPT0_PKS4_PKT1_illllii,comdat
	.protected	_ZN2at6native29vectorized_scatter_add_kernelILi16EN3c104HalfElEEvPT0_PKS4_PKT1_illllii ; -- Begin function _ZN2at6native29vectorized_scatter_add_kernelILi16EN3c104HalfElEEvPT0_PKS4_PKT1_illllii
	.globl	_ZN2at6native29vectorized_scatter_add_kernelILi16EN3c104HalfElEEvPT0_PKS4_PKT1_illllii
	.p2align	8
	.type	_ZN2at6native29vectorized_scatter_add_kernelILi16EN3c104HalfElEEvPT0_PKS4_PKT1_illllii,@function
_ZN2at6native29vectorized_scatter_add_kernelILi16EN3c104HalfElEEvPT0_PKS4_PKT1_illllii: ; @_ZN2at6native29vectorized_scatter_add_kernelILi16EN3c104HalfElEEvPT0_PKS4_PKT1_illllii
; %bb.0:
	s_load_b64 s[2:3], s[0:1], 0x40
	s_bfe_u32 s6, ttmp6, 0x4000c
	s_getreg_b32 s12, hwreg(HW_REG_IB_STS2, 6, 4)
	s_add_co_i32 s6, s6, 1
	s_delay_alu instid0(SALU_CYCLE_1) | instskip(SKIP_3) | instid1(SALU_CYCLE_2)
	s_mul_i32 s6, ttmp9, s6
	s_wait_kmcnt 0x0
	s_cvt_f32_u32 s4, s2
	s_sub_co_i32 s5, 0, s2
	v_rcp_iflag_f32_e32 v1, s4
	v_nop
	s_delay_alu instid0(TRANS32_DEP_1) | instskip(SKIP_1) | instid1(SALU_CYCLE_3)
	v_readfirstlane_b32 s4, v1
	s_mul_f32 s4, s4, 0x4f7ffffe
	s_cvt_u32_f32 s4, s4
	s_delay_alu instid0(SALU_CYCLE_3) | instskip(NEXT) | instid1(SALU_CYCLE_1)
	s_mul_i32 s5, s5, s4
	s_mul_hi_u32 s5, s4, s5
	s_delay_alu instid0(SALU_CYCLE_1)
	s_add_co_i32 s4, s4, s5
	s_and_b32 s5, ttmp6, 15
	v_mul_hi_u32 v1, v0, s4
	s_load_b32 s4, s[0:1], 0x18
	s_add_co_i32 s5, s5, s6
	s_cmp_eq_u32 s12, 0
	s_cselect_b32 s5, ttmp9, s5
	s_delay_alu instid0(VALU_DEP_1) | instskip(NEXT) | instid1(VALU_DEP_1)
	v_mul_lo_u32 v2, v1, s2
	v_dual_add_nc_u32 v3, 1, v1 :: v_dual_sub_nc_u32 v2, v0, v2
	s_delay_alu instid0(VALU_DEP_1) | instskip(SKIP_1) | instid1(VALU_DEP_2)
	v_subrev_nc_u32_e32 v4, s2, v2
	v_cmp_le_u32_e32 vcc_lo, s2, v2
	v_dual_cndmask_b32 v1, v1, v3 :: v_dual_cndmask_b32 v2, v2, v4
	s_delay_alu instid0(VALU_DEP_1) | instskip(NEXT) | instid1(VALU_DEP_2)
	v_add_nc_u32_e32 v3, 1, v1
	v_cmp_le_u32_e32 vcc_lo, s2, v2
	s_delay_alu instid0(VALU_DEP_2) | instskip(NEXT) | instid1(VALU_DEP_1)
	v_cndmask_b32_e32 v4, v1, v3, vcc_lo
	v_mad_u32 v1, s3, s5, v4
	s_mov_b32 s3, exec_lo
	s_wait_kmcnt 0x0
	s_delay_alu instid0(VALU_DEP_1)
	v_cmpx_gt_i32_e64 s4, v1
	s_cbranch_execz .LBB6_56
; %bb.1:
	s_load_b64 s[4:5], s[0:1], 0x10
	s_mov_b32 s3, exec_lo
	s_wait_kmcnt 0x0
	global_load_b64 v[2:3], v1, s[4:5] scale_offset
	s_wait_xcnt 0x0
	s_mov_b32 s4, -1
	s_wait_loadcnt 0x0
	v_cmpx_lt_i64_e32 -1, v[2:3]
	s_cbranch_execz .LBB6_55
; %bb.2:
	s_load_b256 s[4:11], s[0:1], 0x20
	s_get_pc_i64 s[14:15]
	s_add_nc_u64 s[14:15], s[14:15], .str.1@rel64+4
	s_delay_alu instid0(SALU_CYCLE_1) | instskip(SKIP_3) | instid1(SALU_CYCLE_1)
	s_cmp_eq_u64 s[14:15], 0
	s_wait_kmcnt 0x0
	v_cmp_le_i64_e32 vcc_lo, s[6:7], v[2:3]
	s_cselect_b32 s6, -1, 0
	s_or_b32 s6, vcc_lo, s6
	s_delay_alu instid0(SALU_CYCLE_1) | instskip(NEXT) | instid1(SALU_CYCLE_1)
	s_xor_b32 s11, s6, -1
	s_and_saveexec_b32 s7, s11
	s_cbranch_execz .LBB6_54
; %bb.3:
	s_bfe_u32 s11, ttmp6, 0x40010
	s_bfe_u32 s13, ttmp6, 0x40004
	s_add_co_i32 s11, s11, 1
	s_delay_alu instid0(SALU_CYCLE_1) | instskip(NEXT) | instid1(SALU_CYCLE_1)
	s_mul_i32 s11, ttmp7, s11
	s_add_co_i32 s13, s13, s11
	s_cmp_eq_u32 s12, 0
	s_cselect_b32 s11, ttmp7, s13
	s_delay_alu instid0(SALU_CYCLE_1) | instskip(SKIP_1) | instid1(VALU_DEP_1)
	v_sub_nc_u32_e32 v4, s11, v4
	s_mov_b32 s11, 0
	v_mul_lo_u32 v4, v4, s2
	s_delay_alu instid0(VALU_DEP_1) | instskip(NEXT) | instid1(VALU_DEP_1)
	v_add_lshl_u32 v4, v4, v0, 4
	v_ashrrev_i32_e32 v5, 31, v4
	s_delay_alu instid0(VALU_DEP_1)
	v_cmp_gt_i64_e32 vcc_lo, s[4:5], v[4:5]
	s_and_b32 exec_lo, exec_lo, vcc_lo
	s_cbranch_execz .LBB6_54
; %bb.4:
	s_clause 0x1
	s_load_b128 s[12:15], s[0:1], 0x0
	s_load_b32 s16, s[0:1], 0x4c
	v_mul_lo_u32 v0, v1, s10
	s_delay_alu instid0(VALU_DEP_1) | instskip(SKIP_2) | instid1(VALU_DEP_2)
	v_dual_mov_b32 v11, 0 :: v_dual_ashrrev_i32 v1, 31, v0
	s_wait_kmcnt 0x0
	v_mad_nc_u64_u32 v[6:7], v2, s8, s[12:13]
	v_add_nc_u64_e32 v[8:9], s[14:15], v[0:1]
	s_mul_i32 s0, s2, s16
	s_delay_alu instid0(SALU_CYCLE_1) | instskip(NEXT) | instid1(VALU_DEP_2)
	s_lshl_b32 s2, s0, 4
	v_mad_u32 v3, v3, s8, v7
	s_delay_alu instid0(VALU_DEP_1)
	v_mad_u32 v7, v2, s9, v3
	s_branch .LBB6_6
.LBB6_5:                                ;   in Loop: Header=BB6_6 Depth=1
	s_or_b32 exec_lo, exec_lo, s8
	v_add_nc_u32_e32 v4, s2, v4
	s_delay_alu instid0(VALU_DEP_1) | instskip(NEXT) | instid1(VALU_DEP_1)
	v_ashrrev_i32_e32 v5, 31, v4
	v_cmp_le_i64_e32 vcc_lo, s[4:5], v[4:5]
	s_or_b32 s11, vcc_lo, s11
	s_delay_alu instid0(SALU_CYCLE_1)
	s_and_not1_b32 exec_lo, exec_lo, s11
	s_cbranch_execz .LBB6_54
.LBB6_6:                                ; =>This Loop Header: Depth=1
                                        ;     Child Loop BB6_8 Depth 2
                                        ;     Child Loop BB6_14 Depth 2
                                        ;     Child Loop BB6_20 Depth 2
                                        ;     Child Loop BB6_26 Depth 2
                                        ;     Child Loop BB6_32 Depth 2
                                        ;     Child Loop BB6_38 Depth 2
                                        ;     Child Loop BB6_44 Depth 2
                                        ;     Child Loop BB6_50 Depth 2
	s_delay_alu instid0(VALU_DEP_1) | instskip(SKIP_2) | instid1(VALU_DEP_2)
	v_add_nc_u64_e32 v[12:13], v[6:7], v[4:5]
	v_add_nc_u64_e32 v[18:19], v[8:9], v[4:5]
	s_mov_b32 s8, 0
	v_and_b32_e32 v10, 2, v12
	s_delay_alu instid0(VALU_DEP_1) | instskip(SKIP_2) | instid1(VALU_DEP_3)
	v_sub_nc_u64_e32 v[0:1], 0, v[10:11]
	v_cmp_ne_u32_e64 s0, 0, v10
	v_cmp_eq_u64_e32 vcc_lo, 0, v[10:11]
	v_add_nc_u64_e32 v[14:15], v[12:13], v[0:1]
	global_load_b128 v[0:3], v[18:19], off
	global_load_b32 v17, v[14:15], off
	s_branch .LBB6_8
.LBB6_7:                                ;   in Loop: Header=BB6_8 Depth=2
	s_or_b32 exec_lo, exec_lo, s1
	global_atomic_cmpswap_b32 v5, v[14:15], v[16:17], off th:TH_ATOMIC_RETURN scope:SCOPE_DEV
	s_wait_loadcnt 0x0
	v_cmp_eq_u32_e64 s1, v17, v5
	v_mov_b32_e32 v17, v5
	s_or_b32 s8, s1, s8
	s_delay_alu instid0(SALU_CYCLE_1)
	s_and_not1_b32 exec_lo, exec_lo, s8
	s_cbranch_execz .LBB6_12
.LBB6_8:                                ;   Parent Loop BB6_6 Depth=1
                                        ; =>  This Inner Loop Header: Depth=2
	s_wait_loadcnt 0x0
	v_lshrrev_b32_e32 v5, 16, v17
	s_delay_alu instid0(VALU_DEP_1) | instskip(NEXT) | instid1(VALU_DEP_1)
	v_cndmask_b32_e32 v5, v5, v17, vcc_lo
	v_add_f16_e32 v5, v0, v5
	s_delay_alu instid0(VALU_DEP_1) | instskip(SKIP_1) | instid1(SALU_CYCLE_1)
	v_and_b32_e32 v5, 0xffff, v5
	s_and_saveexec_b32 s1, s0
	s_xor_b32 s1, exec_lo, s1
; %bb.9:                                ;   in Loop: Header=BB6_8 Depth=2
	v_and_b32_e32 v10, 0xffff, v17
	s_delay_alu instid0(VALU_DEP_1)
	v_lshl_or_b32 v16, v5, 16, v10
                                        ; implicit-def: $vgpr5
; %bb.10:                               ;   in Loop: Header=BB6_8 Depth=2
	s_and_not1_saveexec_b32 s1, s1
	s_cbranch_execz .LBB6_7
; %bb.11:                               ;   in Loop: Header=BB6_8 Depth=2
	v_and_or_b32 v16, 0xffff0000, v17, v5
	s_branch .LBB6_7
.LBB6_12:                               ;   in Loop: Header=BB6_6 Depth=1
	s_or_b32 exec_lo, exec_lo, s8
	v_add_nc_u32_e32 v5, 2, v12
	s_mov_b32 s8, 0
	s_delay_alu instid0(VALU_DEP_1) | instskip(NEXT) | instid1(VALU_DEP_1)
	v_dual_lshrrev_b32 v0, 16, v0 :: v_dual_bitop2_b32 v10, 2, v5 bitop3:0x40
	v_sub_nc_u64_e32 v[14:15], 0, v[10:11]
	v_cmp_ne_u32_e64 s0, 0, v10
	v_cmp_eq_u32_e32 vcc_lo, 0, v10
	s_delay_alu instid0(VALU_DEP_3)
	v_add_nc_u64_e32 v[14:15], v[12:13], v[14:15]
	global_load_b32 v17, v[14:15], off offset:2
	s_branch .LBB6_14
.LBB6_13:                               ;   in Loop: Header=BB6_14 Depth=2
	s_or_b32 exec_lo, exec_lo, s1
	global_atomic_cmpswap_b32 v5, v[14:15], v[16:17], off offset:2 th:TH_ATOMIC_RETURN scope:SCOPE_DEV
	s_wait_loadcnt 0x0
	v_cmp_eq_u32_e64 s1, v17, v5
	v_mov_b32_e32 v17, v5
	s_or_b32 s8, s1, s8
	s_delay_alu instid0(SALU_CYCLE_1)
	s_and_not1_b32 exec_lo, exec_lo, s8
	s_cbranch_execz .LBB6_18
.LBB6_14:                               ;   Parent Loop BB6_6 Depth=1
                                        ; =>  This Inner Loop Header: Depth=2
	s_wait_loadcnt 0x0
	v_lshrrev_b32_e32 v5, 16, v17
	s_delay_alu instid0(VALU_DEP_1) | instskip(NEXT) | instid1(VALU_DEP_1)
	v_cndmask_b32_e32 v5, v5, v17, vcc_lo
	v_add_f16_e32 v5, v0, v5
	s_delay_alu instid0(VALU_DEP_1) | instskip(SKIP_1) | instid1(SALU_CYCLE_1)
	v_and_b32_e32 v5, 0xffff, v5
	s_and_saveexec_b32 s1, s0
	s_xor_b32 s1, exec_lo, s1
; %bb.15:                               ;   in Loop: Header=BB6_14 Depth=2
	v_and_b32_e32 v10, 0xffff, v17
	s_delay_alu instid0(VALU_DEP_1)
	v_lshl_or_b32 v16, v5, 16, v10
                                        ; implicit-def: $vgpr5
; %bb.16:                               ;   in Loop: Header=BB6_14 Depth=2
	s_and_not1_saveexec_b32 s1, s1
	s_cbranch_execz .LBB6_13
; %bb.17:                               ;   in Loop: Header=BB6_14 Depth=2
	v_and_or_b32 v16, 0xffff0000, v17, v5
	s_branch .LBB6_13
.LBB6_18:                               ;   in Loop: Header=BB6_6 Depth=1
	s_or_b32 exec_lo, exec_lo, s8
	v_add_nc_u32_e32 v0, 4, v12
	s_mov_b32 s8, 0
	s_delay_alu instid0(VALU_DEP_1) | instskip(NEXT) | instid1(VALU_DEP_1)
	v_and_b32_e32 v10, 2, v0
	v_sub_nc_u64_e32 v[14:15], 0, v[10:11]
	v_cmp_ne_u32_e64 s0, 0, v10
	v_cmp_eq_u32_e32 vcc_lo, 0, v10
	s_delay_alu instid0(VALU_DEP_3)
	v_add_nc_u64_e32 v[14:15], v[12:13], v[14:15]
	global_load_b32 v17, v[14:15], off offset:4
	s_branch .LBB6_20
.LBB6_19:                               ;   in Loop: Header=BB6_20 Depth=2
	s_or_b32 exec_lo, exec_lo, s1
	global_atomic_cmpswap_b32 v0, v[14:15], v[16:17], off offset:4 th:TH_ATOMIC_RETURN scope:SCOPE_DEV
	s_wait_loadcnt 0x0
	v_cmp_eq_u32_e64 s1, v17, v0
	v_mov_b32_e32 v17, v0
	s_or_b32 s8, s1, s8
	s_delay_alu instid0(SALU_CYCLE_1)
	s_and_not1_b32 exec_lo, exec_lo, s8
	s_cbranch_execz .LBB6_24
.LBB6_20:                               ;   Parent Loop BB6_6 Depth=1
                                        ; =>  This Inner Loop Header: Depth=2
	s_wait_loadcnt 0x0
	v_lshrrev_b32_e32 v0, 16, v17
	s_delay_alu instid0(VALU_DEP_1) | instskip(NEXT) | instid1(VALU_DEP_1)
	v_cndmask_b32_e32 v0, v0, v17, vcc_lo
	v_add_f16_e32 v0, v1, v0
	s_delay_alu instid0(VALU_DEP_1) | instskip(SKIP_1) | instid1(SALU_CYCLE_1)
	v_and_b32_e32 v0, 0xffff, v0
	s_and_saveexec_b32 s1, s0
	s_xor_b32 s1, exec_lo, s1
; %bb.21:                               ;   in Loop: Header=BB6_20 Depth=2
	v_and_b32_e32 v5, 0xffff, v17
	s_delay_alu instid0(VALU_DEP_1)
	v_lshl_or_b32 v16, v0, 16, v5
                                        ; implicit-def: $vgpr0
; %bb.22:                               ;   in Loop: Header=BB6_20 Depth=2
	s_and_not1_saveexec_b32 s1, s1
	s_cbranch_execz .LBB6_19
; %bb.23:                               ;   in Loop: Header=BB6_20 Depth=2
	v_and_or_b32 v16, 0xffff0000, v17, v0
	s_branch .LBB6_19
.LBB6_24:                               ;   in Loop: Header=BB6_6 Depth=1
	s_or_b32 exec_lo, exec_lo, s8
	v_add_nc_u32_e32 v0, 6, v12
	s_mov_b32 s8, 0
	s_delay_alu instid0(VALU_DEP_1) | instskip(NEXT) | instid1(VALU_DEP_1)
	v_dual_lshrrev_b32 v0, 16, v1 :: v_dual_bitop2_b32 v10, 2, v0 bitop3:0x40
	v_sub_nc_u64_e32 v[14:15], 0, v[10:11]
	v_cmp_ne_u32_e64 s0, 0, v10
	v_cmp_eq_u32_e32 vcc_lo, 0, v10
	s_delay_alu instid0(VALU_DEP_3)
	v_add_nc_u64_e32 v[14:15], v[12:13], v[14:15]
	global_load_b32 v17, v[14:15], off offset:6
	s_branch .LBB6_26
.LBB6_25:                               ;   in Loop: Header=BB6_26 Depth=2
	s_or_b32 exec_lo, exec_lo, s1
	global_atomic_cmpswap_b32 v1, v[14:15], v[16:17], off offset:6 th:TH_ATOMIC_RETURN scope:SCOPE_DEV
	s_wait_loadcnt 0x0
	v_cmp_eq_u32_e64 s1, v17, v1
	v_mov_b32_e32 v17, v1
	s_or_b32 s8, s1, s8
	s_delay_alu instid0(SALU_CYCLE_1)
	s_and_not1_b32 exec_lo, exec_lo, s8
	s_cbranch_execz .LBB6_30
.LBB6_26:                               ;   Parent Loop BB6_6 Depth=1
                                        ; =>  This Inner Loop Header: Depth=2
	s_wait_loadcnt 0x0
	v_lshrrev_b32_e32 v1, 16, v17
	s_delay_alu instid0(VALU_DEP_1) | instskip(NEXT) | instid1(VALU_DEP_1)
	v_cndmask_b32_e32 v1, v1, v17, vcc_lo
	v_add_f16_e32 v1, v0, v1
	s_delay_alu instid0(VALU_DEP_1) | instskip(SKIP_1) | instid1(SALU_CYCLE_1)
	v_and_b32_e32 v1, 0xffff, v1
	s_and_saveexec_b32 s1, s0
	s_xor_b32 s1, exec_lo, s1
; %bb.27:                               ;   in Loop: Header=BB6_26 Depth=2
	v_and_b32_e32 v5, 0xffff, v17
	s_delay_alu instid0(VALU_DEP_1)
	v_lshl_or_b32 v16, v1, 16, v5
                                        ; implicit-def: $vgpr1
; %bb.28:                               ;   in Loop: Header=BB6_26 Depth=2
	s_and_not1_saveexec_b32 s1, s1
	s_cbranch_execz .LBB6_25
; %bb.29:                               ;   in Loop: Header=BB6_26 Depth=2
	v_and_or_b32 v16, 0xffff0000, v17, v1
	s_branch .LBB6_25
.LBB6_30:                               ;   in Loop: Header=BB6_6 Depth=1
	s_or_b32 exec_lo, exec_lo, s8
	v_add_nc_u32_e32 v0, 8, v12
	s_mov_b32 s8, 0
	s_delay_alu instid0(VALU_DEP_1) | instskip(NEXT) | instid1(VALU_DEP_1)
	v_and_b32_e32 v10, 2, v0
	v_sub_nc_u64_e32 v[0:1], 0, v[10:11]
	v_cmp_ne_u32_e64 s0, 0, v10
	v_cmp_eq_u32_e32 vcc_lo, 0, v10
	s_delay_alu instid0(VALU_DEP_3)
	v_add_nc_u64_e32 v[0:1], v[12:13], v[0:1]
	global_load_b32 v15, v[0:1], off offset:8
	s_branch .LBB6_32
.LBB6_31:                               ;   in Loop: Header=BB6_32 Depth=2
	s_or_b32 exec_lo, exec_lo, s1
	global_atomic_cmpswap_b32 v5, v[0:1], v[14:15], off offset:8 th:TH_ATOMIC_RETURN scope:SCOPE_DEV
	s_wait_loadcnt 0x0
	v_cmp_eq_u32_e64 s1, v15, v5
	v_mov_b32_e32 v15, v5
	s_or_b32 s8, s1, s8
	s_delay_alu instid0(SALU_CYCLE_1)
	s_and_not1_b32 exec_lo, exec_lo, s8
	s_cbranch_execz .LBB6_36
.LBB6_32:                               ;   Parent Loop BB6_6 Depth=1
                                        ; =>  This Inner Loop Header: Depth=2
	s_wait_loadcnt 0x0
	v_lshrrev_b32_e32 v5, 16, v15
	s_delay_alu instid0(VALU_DEP_1) | instskip(NEXT) | instid1(VALU_DEP_1)
	v_cndmask_b32_e32 v5, v5, v15, vcc_lo
	v_add_f16_e32 v5, v2, v5
	s_delay_alu instid0(VALU_DEP_1) | instskip(SKIP_1) | instid1(SALU_CYCLE_1)
	v_and_b32_e32 v5, 0xffff, v5
	s_and_saveexec_b32 s1, s0
	s_xor_b32 s1, exec_lo, s1
; %bb.33:                               ;   in Loop: Header=BB6_32 Depth=2
	v_and_b32_e32 v10, 0xffff, v15
	s_delay_alu instid0(VALU_DEP_1)
	v_lshl_or_b32 v14, v5, 16, v10
                                        ; implicit-def: $vgpr5
; %bb.34:                               ;   in Loop: Header=BB6_32 Depth=2
	s_and_not1_saveexec_b32 s1, s1
	s_cbranch_execz .LBB6_31
; %bb.35:                               ;   in Loop: Header=BB6_32 Depth=2
	v_and_or_b32 v14, 0xffff0000, v15, v5
	s_branch .LBB6_31
.LBB6_36:                               ;   in Loop: Header=BB6_6 Depth=1
	s_or_b32 exec_lo, exec_lo, s8
	v_dual_add_nc_u32 v0, 10, v12 :: v_dual_lshrrev_b32 v2, 16, v2
	s_mov_b32 s8, 0
	s_delay_alu instid0(VALU_DEP_1) | instskip(NEXT) | instid1(VALU_DEP_1)
	v_and_b32_e32 v10, 2, v0
	v_sub_nc_u64_e32 v[0:1], 0, v[10:11]
	v_cmp_ne_u32_e64 s0, 0, v10
	v_cmp_eq_u32_e32 vcc_lo, 0, v10
	s_delay_alu instid0(VALU_DEP_3)
	v_add_nc_u64_e32 v[0:1], v[12:13], v[0:1]
	global_load_b32 v15, v[0:1], off offset:10
	s_branch .LBB6_38
.LBB6_37:                               ;   in Loop: Header=BB6_38 Depth=2
	s_or_b32 exec_lo, exec_lo, s1
	global_atomic_cmpswap_b32 v5, v[0:1], v[14:15], off offset:10 th:TH_ATOMIC_RETURN scope:SCOPE_DEV
	s_wait_loadcnt 0x0
	v_cmp_eq_u32_e64 s1, v15, v5
	v_mov_b32_e32 v15, v5
	s_or_b32 s8, s1, s8
	s_delay_alu instid0(SALU_CYCLE_1)
	s_and_not1_b32 exec_lo, exec_lo, s8
	s_cbranch_execz .LBB6_42
.LBB6_38:                               ;   Parent Loop BB6_6 Depth=1
                                        ; =>  This Inner Loop Header: Depth=2
	s_wait_loadcnt 0x0
	v_lshrrev_b32_e32 v5, 16, v15
	s_delay_alu instid0(VALU_DEP_1) | instskip(NEXT) | instid1(VALU_DEP_1)
	v_cndmask_b32_e32 v5, v5, v15, vcc_lo
	v_add_f16_e32 v5, v2, v5
	s_delay_alu instid0(VALU_DEP_1) | instskip(SKIP_1) | instid1(SALU_CYCLE_1)
	v_and_b32_e32 v5, 0xffff, v5
	s_and_saveexec_b32 s1, s0
	s_xor_b32 s1, exec_lo, s1
; %bb.39:                               ;   in Loop: Header=BB6_38 Depth=2
	v_and_b32_e32 v10, 0xffff, v15
	s_delay_alu instid0(VALU_DEP_1)
	v_lshl_or_b32 v14, v5, 16, v10
                                        ; implicit-def: $vgpr5
; %bb.40:                               ;   in Loop: Header=BB6_38 Depth=2
	s_and_not1_saveexec_b32 s1, s1
	s_cbranch_execz .LBB6_37
; %bb.41:                               ;   in Loop: Header=BB6_38 Depth=2
	v_and_or_b32 v14, 0xffff0000, v15, v5
	s_branch .LBB6_37
.LBB6_42:                               ;   in Loop: Header=BB6_6 Depth=1
	s_or_b32 exec_lo, exec_lo, s8
	v_add_nc_u32_e32 v0, 12, v12
	s_mov_b32 s8, 0
	s_delay_alu instid0(VALU_DEP_1) | instskip(NEXT) | instid1(VALU_DEP_1)
	v_and_b32_e32 v10, 2, v0
	v_sub_nc_u64_e32 v[0:1], 0, v[10:11]
	v_cmp_ne_u32_e64 s0, 0, v10
	v_cmp_eq_u32_e32 vcc_lo, 0, v10
	s_delay_alu instid0(VALU_DEP_3)
	v_add_nc_u64_e32 v[0:1], v[12:13], v[0:1]
	global_load_b32 v15, v[0:1], off offset:12
	s_branch .LBB6_44
.LBB6_43:                               ;   in Loop: Header=BB6_44 Depth=2
	s_or_b32 exec_lo, exec_lo, s1
	global_atomic_cmpswap_b32 v2, v[0:1], v[14:15], off offset:12 th:TH_ATOMIC_RETURN scope:SCOPE_DEV
	s_wait_loadcnt 0x0
	v_cmp_eq_u32_e64 s1, v15, v2
	v_mov_b32_e32 v15, v2
	s_or_b32 s8, s1, s8
	s_delay_alu instid0(SALU_CYCLE_1)
	s_and_not1_b32 exec_lo, exec_lo, s8
	s_cbranch_execz .LBB6_48
.LBB6_44:                               ;   Parent Loop BB6_6 Depth=1
                                        ; =>  This Inner Loop Header: Depth=2
	s_wait_loadcnt 0x0
	v_lshrrev_b32_e32 v2, 16, v15
	s_delay_alu instid0(VALU_DEP_1) | instskip(NEXT) | instid1(VALU_DEP_1)
	v_cndmask_b32_e32 v2, v2, v15, vcc_lo
	v_add_f16_e32 v2, v3, v2
	s_delay_alu instid0(VALU_DEP_1) | instskip(SKIP_1) | instid1(SALU_CYCLE_1)
	v_and_b32_e32 v2, 0xffff, v2
	s_and_saveexec_b32 s1, s0
	s_xor_b32 s1, exec_lo, s1
; %bb.45:                               ;   in Loop: Header=BB6_44 Depth=2
	v_and_b32_e32 v5, 0xffff, v15
	s_delay_alu instid0(VALU_DEP_1)
	v_lshl_or_b32 v14, v2, 16, v5
                                        ; implicit-def: $vgpr2
; %bb.46:                               ;   in Loop: Header=BB6_44 Depth=2
	s_and_not1_saveexec_b32 s1, s1
	s_cbranch_execz .LBB6_43
; %bb.47:                               ;   in Loop: Header=BB6_44 Depth=2
	v_and_or_b32 v14, 0xffff0000, v15, v2
	s_branch .LBB6_43
.LBB6_48:                               ;   in Loop: Header=BB6_6 Depth=1
	s_or_b32 exec_lo, exec_lo, s8
	v_dual_add_nc_u32 v0, 14, v12 :: v_dual_lshrrev_b32 v2, 16, v3
	s_mov_b32 s8, 0
	s_delay_alu instid0(VALU_DEP_1) | instskip(NEXT) | instid1(VALU_DEP_1)
	v_and_b32_e32 v10, 2, v0
	v_sub_nc_u64_e32 v[0:1], 0, v[10:11]
	v_cmp_ne_u32_e64 s0, 0, v10
	v_cmp_eq_u32_e32 vcc_lo, 0, v10
	s_delay_alu instid0(VALU_DEP_3)
	v_add_nc_u64_e32 v[0:1], v[12:13], v[0:1]
	global_load_b32 v13, v[0:1], off offset:14
	s_branch .LBB6_50
.LBB6_49:                               ;   in Loop: Header=BB6_50 Depth=2
	s_or_b32 exec_lo, exec_lo, s1
	global_atomic_cmpswap_b32 v3, v[0:1], v[12:13], off offset:14 th:TH_ATOMIC_RETURN scope:SCOPE_DEV
	s_wait_loadcnt 0x0
	v_cmp_eq_u32_e64 s1, v13, v3
	v_mov_b32_e32 v13, v3
	s_or_b32 s8, s1, s8
	s_delay_alu instid0(SALU_CYCLE_1)
	s_and_not1_b32 exec_lo, exec_lo, s8
	s_cbranch_execz .LBB6_5
.LBB6_50:                               ;   Parent Loop BB6_6 Depth=1
                                        ; =>  This Inner Loop Header: Depth=2
	s_wait_loadcnt 0x0
	v_lshrrev_b32_e32 v3, 16, v13
	s_delay_alu instid0(VALU_DEP_1) | instskip(NEXT) | instid1(VALU_DEP_1)
	v_cndmask_b32_e32 v3, v3, v13, vcc_lo
	v_add_f16_e32 v3, v2, v3
	s_delay_alu instid0(VALU_DEP_1) | instskip(SKIP_1) | instid1(SALU_CYCLE_1)
	v_and_b32_e32 v3, 0xffff, v3
	s_and_saveexec_b32 s1, s0
	s_xor_b32 s1, exec_lo, s1
; %bb.51:                               ;   in Loop: Header=BB6_50 Depth=2
	v_and_b32_e32 v5, 0xffff, v13
	s_delay_alu instid0(VALU_DEP_1)
	v_lshl_or_b32 v12, v3, 16, v5
                                        ; implicit-def: $vgpr3
; %bb.52:                               ;   in Loop: Header=BB6_50 Depth=2
	s_and_not1_saveexec_b32 s1, s1
	s_cbranch_execz .LBB6_49
; %bb.53:                               ;   in Loop: Header=BB6_50 Depth=2
	v_and_or_b32 v12, 0xffff0000, v13, v3
	s_branch .LBB6_49
.LBB6_54:
	s_or_b32 exec_lo, exec_lo, s7
	s_delay_alu instid0(SALU_CYCLE_1)
	s_or_not1_b32 s4, s6, exec_lo
.LBB6_55:
	s_or_b32 exec_lo, exec_lo, s3
	s_delay_alu instid0(SALU_CYCLE_1)
	s_and_b32 exec_lo, exec_lo, s4
	s_cbranch_execnz .LBB6_57
.LBB6_56:
	s_endpgm
.LBB6_57:
	s_trap 2
	; divergent unreachable
	s_endpgm
	.section	.rodata,"a",@progbits
	.p2align	6, 0x0
	.amdhsa_kernel _ZN2at6native29vectorized_scatter_add_kernelILi16EN3c104HalfElEEvPT0_PKS4_PKT1_illllii
		.amdhsa_group_segment_fixed_size 0
		.amdhsa_private_segment_fixed_size 0
		.amdhsa_kernarg_size 328
		.amdhsa_user_sgpr_count 2
		.amdhsa_user_sgpr_dispatch_ptr 0
		.amdhsa_user_sgpr_queue_ptr 0
		.amdhsa_user_sgpr_kernarg_segment_ptr 1
		.amdhsa_user_sgpr_dispatch_id 0
		.amdhsa_user_sgpr_kernarg_preload_length 0
		.amdhsa_user_sgpr_kernarg_preload_offset 0
		.amdhsa_user_sgpr_private_segment_size 0
		.amdhsa_wavefront_size32 1
		.amdhsa_uses_dynamic_stack 0
		.amdhsa_enable_private_segment 0
		.amdhsa_system_sgpr_workgroup_id_x 1
		.amdhsa_system_sgpr_workgroup_id_y 1
		.amdhsa_system_sgpr_workgroup_id_z 0
		.amdhsa_system_sgpr_workgroup_info 0
		.amdhsa_system_vgpr_workitem_id 0
		.amdhsa_next_free_vgpr 20
		.amdhsa_next_free_sgpr 17
		.amdhsa_named_barrier_count 0
		.amdhsa_reserve_vcc 1
		.amdhsa_float_round_mode_32 0
		.amdhsa_float_round_mode_16_64 0
		.amdhsa_float_denorm_mode_32 3
		.amdhsa_float_denorm_mode_16_64 3
		.amdhsa_fp16_overflow 0
		.amdhsa_memory_ordered 1
		.amdhsa_forward_progress 1
		.amdhsa_inst_pref_size 17
		.amdhsa_round_robin_scheduling 0
		.amdhsa_exception_fp_ieee_invalid_op 0
		.amdhsa_exception_fp_denorm_src 0
		.amdhsa_exception_fp_ieee_div_zero 0
		.amdhsa_exception_fp_ieee_overflow 0
		.amdhsa_exception_fp_ieee_underflow 0
		.amdhsa_exception_fp_ieee_inexact 0
		.amdhsa_exception_int_div_zero 0
	.end_amdhsa_kernel
	.section	.text._ZN2at6native29vectorized_scatter_add_kernelILi16EN3c104HalfElEEvPT0_PKS4_PKT1_illllii,"axG",@progbits,_ZN2at6native29vectorized_scatter_add_kernelILi16EN3c104HalfElEEvPT0_PKS4_PKT1_illllii,comdat
.Lfunc_end6:
	.size	_ZN2at6native29vectorized_scatter_add_kernelILi16EN3c104HalfElEEvPT0_PKS4_PKT1_illllii, .Lfunc_end6-_ZN2at6native29vectorized_scatter_add_kernelILi16EN3c104HalfElEEvPT0_PKS4_PKT1_illllii
                                        ; -- End function
	.set _ZN2at6native29vectorized_scatter_add_kernelILi16EN3c104HalfElEEvPT0_PKS4_PKT1_illllii.num_vgpr, 20
	.set _ZN2at6native29vectorized_scatter_add_kernelILi16EN3c104HalfElEEvPT0_PKS4_PKT1_illllii.num_agpr, 0
	.set _ZN2at6native29vectorized_scatter_add_kernelILi16EN3c104HalfElEEvPT0_PKS4_PKT1_illllii.numbered_sgpr, 17
	.set _ZN2at6native29vectorized_scatter_add_kernelILi16EN3c104HalfElEEvPT0_PKS4_PKT1_illllii.num_named_barrier, 0
	.set _ZN2at6native29vectorized_scatter_add_kernelILi16EN3c104HalfElEEvPT0_PKS4_PKT1_illllii.private_seg_size, 0
	.set _ZN2at6native29vectorized_scatter_add_kernelILi16EN3c104HalfElEEvPT0_PKS4_PKT1_illllii.uses_vcc, 1
	.set _ZN2at6native29vectorized_scatter_add_kernelILi16EN3c104HalfElEEvPT0_PKS4_PKT1_illllii.uses_flat_scratch, 0
	.set _ZN2at6native29vectorized_scatter_add_kernelILi16EN3c104HalfElEEvPT0_PKS4_PKT1_illllii.has_dyn_sized_stack, 0
	.set _ZN2at6native29vectorized_scatter_add_kernelILi16EN3c104HalfElEEvPT0_PKS4_PKT1_illllii.has_recursion, 0
	.set _ZN2at6native29vectorized_scatter_add_kernelILi16EN3c104HalfElEEvPT0_PKS4_PKT1_illllii.has_indirect_call, 0
	.section	.AMDGPU.csdata,"",@progbits
; Kernel info:
; codeLenInByte = 2176
; TotalNumSgprs: 19
; NumVgprs: 20
; ScratchSize: 0
; MemoryBound: 0
; FloatMode: 240
; IeeeMode: 1
; LDSByteSize: 0 bytes/workgroup (compile time only)
; SGPRBlocks: 0
; VGPRBlocks: 1
; NumSGPRsForWavesPerEU: 19
; NumVGPRsForWavesPerEU: 20
; NamedBarCnt: 0
; Occupancy: 16
; WaveLimiterHint : 1
; COMPUTE_PGM_RSRC2:SCRATCH_EN: 0
; COMPUTE_PGM_RSRC2:USER_SGPR: 2
; COMPUTE_PGM_RSRC2:TRAP_HANDLER: 0
; COMPUTE_PGM_RSRC2:TGID_X_EN: 1
; COMPUTE_PGM_RSRC2:TGID_Y_EN: 1
; COMPUTE_PGM_RSRC2:TGID_Z_EN: 0
; COMPUTE_PGM_RSRC2:TIDIG_COMP_CNT: 0
	.section	.text._ZN2at6native29vectorized_scatter_add_kernelILi16EN3c104HalfEiEEvPT0_PKS4_PKT1_illllii,"axG",@progbits,_ZN2at6native29vectorized_scatter_add_kernelILi16EN3c104HalfEiEEvPT0_PKS4_PKT1_illllii,comdat
	.protected	_ZN2at6native29vectorized_scatter_add_kernelILi16EN3c104HalfEiEEvPT0_PKS4_PKT1_illllii ; -- Begin function _ZN2at6native29vectorized_scatter_add_kernelILi16EN3c104HalfEiEEvPT0_PKS4_PKT1_illllii
	.globl	_ZN2at6native29vectorized_scatter_add_kernelILi16EN3c104HalfEiEEvPT0_PKS4_PKT1_illllii
	.p2align	8
	.type	_ZN2at6native29vectorized_scatter_add_kernelILi16EN3c104HalfEiEEvPT0_PKS4_PKT1_illllii,@function
_ZN2at6native29vectorized_scatter_add_kernelILi16EN3c104HalfEiEEvPT0_PKS4_PKT1_illllii: ; @_ZN2at6native29vectorized_scatter_add_kernelILi16EN3c104HalfEiEEvPT0_PKS4_PKT1_illllii
; %bb.0:
	s_load_b64 s[2:3], s[0:1], 0x40
	s_bfe_u32 s6, ttmp6, 0x4000c
	s_getreg_b32 s12, hwreg(HW_REG_IB_STS2, 6, 4)
	s_add_co_i32 s6, s6, 1
	s_delay_alu instid0(SALU_CYCLE_1) | instskip(SKIP_3) | instid1(SALU_CYCLE_2)
	s_mul_i32 s6, ttmp9, s6
	s_wait_kmcnt 0x0
	s_cvt_f32_u32 s4, s2
	s_sub_co_i32 s5, 0, s2
	v_rcp_iflag_f32_e32 v1, s4
	v_nop
	s_delay_alu instid0(TRANS32_DEP_1) | instskip(SKIP_1) | instid1(SALU_CYCLE_3)
	v_readfirstlane_b32 s4, v1
	s_mul_f32 s4, s4, 0x4f7ffffe
	s_cvt_u32_f32 s4, s4
	s_delay_alu instid0(SALU_CYCLE_3) | instskip(NEXT) | instid1(SALU_CYCLE_1)
	s_mul_i32 s5, s5, s4
	s_mul_hi_u32 s5, s4, s5
	s_delay_alu instid0(SALU_CYCLE_1)
	s_add_co_i32 s4, s4, s5
	s_and_b32 s5, ttmp6, 15
	v_mul_hi_u32 v1, v0, s4
	s_load_b32 s4, s[0:1], 0x18
	s_add_co_i32 s5, s5, s6
	s_cmp_eq_u32 s12, 0
	s_cselect_b32 s5, ttmp9, s5
	s_delay_alu instid0(VALU_DEP_1) | instskip(NEXT) | instid1(VALU_DEP_1)
	v_mul_lo_u32 v2, v1, s2
	v_dual_add_nc_u32 v3, 1, v1 :: v_dual_sub_nc_u32 v2, v0, v2
	s_delay_alu instid0(VALU_DEP_1) | instskip(SKIP_1) | instid1(VALU_DEP_2)
	v_subrev_nc_u32_e32 v4, s2, v2
	v_cmp_le_u32_e32 vcc_lo, s2, v2
	v_dual_cndmask_b32 v1, v1, v3 :: v_dual_cndmask_b32 v2, v2, v4
	s_delay_alu instid0(VALU_DEP_1) | instskip(NEXT) | instid1(VALU_DEP_2)
	v_add_nc_u32_e32 v3, 1, v1
	v_cmp_le_u32_e32 vcc_lo, s2, v2
	s_delay_alu instid0(VALU_DEP_2) | instskip(NEXT) | instid1(VALU_DEP_1)
	v_cndmask_b32_e32 v4, v1, v3, vcc_lo
	v_mad_u32 v1, s3, s5, v4
	s_mov_b32 s3, exec_lo
	s_wait_kmcnt 0x0
	s_delay_alu instid0(VALU_DEP_1)
	v_cmpx_gt_i32_e64 s4, v1
	s_cbranch_execz .LBB7_56
; %bb.1:
	s_load_b64 s[4:5], s[0:1], 0x10
	s_mov_b32 s3, exec_lo
	s_wait_kmcnt 0x0
	global_load_b32 v2, v1, s[4:5] scale_offset
	s_wait_xcnt 0x0
	s_mov_b32 s4, -1
	s_wait_loadcnt 0x0
	v_cmpx_lt_i32_e32 -1, v2
	s_cbranch_execz .LBB7_55
; %bb.2:
	s_load_b256 s[4:11], s[0:1], 0x20
	v_ashrrev_i32_e32 v3, 31, v2
	s_get_pc_i64 s[14:15]
	s_add_nc_u64 s[14:15], s[14:15], .str.1@rel64+4
	s_delay_alu instid0(SALU_CYCLE_1) | instskip(SKIP_3) | instid1(SALU_CYCLE_1)
	s_cmp_eq_u64 s[14:15], 0
	s_wait_kmcnt 0x0
	v_cmp_le_i64_e32 vcc_lo, s[6:7], v[2:3]
	s_cselect_b32 s6, -1, 0
	s_or_b32 s6, vcc_lo, s6
	s_delay_alu instid0(SALU_CYCLE_1) | instskip(NEXT) | instid1(SALU_CYCLE_1)
	s_xor_b32 s11, s6, -1
	s_and_saveexec_b32 s7, s11
	s_cbranch_execz .LBB7_54
; %bb.3:
	s_bfe_u32 s11, ttmp6, 0x40010
	s_bfe_u32 s13, ttmp6, 0x40004
	s_add_co_i32 s11, s11, 1
	s_delay_alu instid0(SALU_CYCLE_1) | instskip(NEXT) | instid1(SALU_CYCLE_1)
	s_mul_i32 s11, ttmp7, s11
	s_add_co_i32 s13, s13, s11
	s_cmp_eq_u32 s12, 0
	s_cselect_b32 s11, ttmp7, s13
	s_delay_alu instid0(SALU_CYCLE_1) | instskip(SKIP_1) | instid1(VALU_DEP_1)
	v_sub_nc_u32_e32 v4, s11, v4
	s_mov_b32 s11, 0
	v_mul_lo_u32 v4, v4, s2
	s_delay_alu instid0(VALU_DEP_1) | instskip(NEXT) | instid1(VALU_DEP_1)
	v_add_lshl_u32 v4, v4, v0, 4
	v_ashrrev_i32_e32 v5, 31, v4
	s_delay_alu instid0(VALU_DEP_1)
	v_cmp_gt_i64_e32 vcc_lo, s[4:5], v[4:5]
	s_and_b32 exec_lo, exec_lo, vcc_lo
	s_cbranch_execz .LBB7_54
; %bb.4:
	s_clause 0x1
	s_load_b128 s[12:15], s[0:1], 0x0
	s_load_b32 s16, s[0:1], 0x4c
	v_mul_lo_u32 v0, v1, s10
	s_delay_alu instid0(VALU_DEP_1) | instskip(SKIP_2) | instid1(VALU_DEP_2)
	v_dual_mov_b32 v11, 0 :: v_dual_ashrrev_i32 v1, 31, v0
	s_wait_kmcnt 0x0
	v_mad_nc_u64_u32 v[6:7], s8, v2, s[12:13]
	v_add_nc_u64_e32 v[8:9], s[14:15], v[0:1]
	s_mul_i32 s0, s2, s16
	s_delay_alu instid0(SALU_CYCLE_1) | instskip(NEXT) | instid1(VALU_DEP_2)
	s_lshl_b32 s2, s0, 4
	v_mad_u32 v2, s9, v2, v7
	s_delay_alu instid0(VALU_DEP_1)
	v_mad_u32 v7, s8, v3, v2
	s_branch .LBB7_6
.LBB7_5:                                ;   in Loop: Header=BB7_6 Depth=1
	s_or_b32 exec_lo, exec_lo, s8
	v_add_nc_u32_e32 v4, s2, v4
	s_delay_alu instid0(VALU_DEP_1) | instskip(NEXT) | instid1(VALU_DEP_1)
	v_ashrrev_i32_e32 v5, 31, v4
	v_cmp_le_i64_e32 vcc_lo, s[4:5], v[4:5]
	s_or_b32 s11, vcc_lo, s11
	s_delay_alu instid0(SALU_CYCLE_1)
	s_and_not1_b32 exec_lo, exec_lo, s11
	s_cbranch_execz .LBB7_54
.LBB7_6:                                ; =>This Loop Header: Depth=1
                                        ;     Child Loop BB7_8 Depth 2
                                        ;     Child Loop BB7_14 Depth 2
	;; [unrolled: 1-line block ×8, first 2 shown]
	s_delay_alu instid0(VALU_DEP_1) | instskip(SKIP_2) | instid1(VALU_DEP_2)
	v_add_nc_u64_e32 v[12:13], v[6:7], v[4:5]
	v_add_nc_u64_e32 v[18:19], v[8:9], v[4:5]
	s_mov_b32 s8, 0
	v_and_b32_e32 v10, 2, v12
	s_delay_alu instid0(VALU_DEP_1) | instskip(SKIP_2) | instid1(VALU_DEP_3)
	v_sub_nc_u64_e32 v[0:1], 0, v[10:11]
	v_cmp_ne_u32_e64 s0, 0, v10
	v_cmp_eq_u64_e32 vcc_lo, 0, v[10:11]
	v_add_nc_u64_e32 v[14:15], v[12:13], v[0:1]
	global_load_b128 v[0:3], v[18:19], off
	global_load_b32 v17, v[14:15], off
	s_branch .LBB7_8
.LBB7_7:                                ;   in Loop: Header=BB7_8 Depth=2
	s_or_b32 exec_lo, exec_lo, s1
	global_atomic_cmpswap_b32 v5, v[14:15], v[16:17], off th:TH_ATOMIC_RETURN scope:SCOPE_DEV
	s_wait_loadcnt 0x0
	v_cmp_eq_u32_e64 s1, v17, v5
	v_mov_b32_e32 v17, v5
	s_or_b32 s8, s1, s8
	s_delay_alu instid0(SALU_CYCLE_1)
	s_and_not1_b32 exec_lo, exec_lo, s8
	s_cbranch_execz .LBB7_12
.LBB7_8:                                ;   Parent Loop BB7_6 Depth=1
                                        ; =>  This Inner Loop Header: Depth=2
	s_wait_loadcnt 0x0
	v_lshrrev_b32_e32 v5, 16, v17
	s_delay_alu instid0(VALU_DEP_1) | instskip(NEXT) | instid1(VALU_DEP_1)
	v_cndmask_b32_e32 v5, v5, v17, vcc_lo
	v_add_f16_e32 v5, v0, v5
	s_delay_alu instid0(VALU_DEP_1) | instskip(SKIP_1) | instid1(SALU_CYCLE_1)
	v_and_b32_e32 v5, 0xffff, v5
	s_and_saveexec_b32 s1, s0
	s_xor_b32 s1, exec_lo, s1
; %bb.9:                                ;   in Loop: Header=BB7_8 Depth=2
	v_and_b32_e32 v10, 0xffff, v17
	s_delay_alu instid0(VALU_DEP_1)
	v_lshl_or_b32 v16, v5, 16, v10
                                        ; implicit-def: $vgpr5
; %bb.10:                               ;   in Loop: Header=BB7_8 Depth=2
	s_and_not1_saveexec_b32 s1, s1
	s_cbranch_execz .LBB7_7
; %bb.11:                               ;   in Loop: Header=BB7_8 Depth=2
	v_and_or_b32 v16, 0xffff0000, v17, v5
	s_branch .LBB7_7
.LBB7_12:                               ;   in Loop: Header=BB7_6 Depth=1
	s_or_b32 exec_lo, exec_lo, s8
	v_add_nc_u32_e32 v5, 2, v12
	s_mov_b32 s8, 0
	s_delay_alu instid0(VALU_DEP_1) | instskip(NEXT) | instid1(VALU_DEP_1)
	v_dual_lshrrev_b32 v0, 16, v0 :: v_dual_bitop2_b32 v10, 2, v5 bitop3:0x40
	v_sub_nc_u64_e32 v[14:15], 0, v[10:11]
	v_cmp_ne_u32_e64 s0, 0, v10
	v_cmp_eq_u32_e32 vcc_lo, 0, v10
	s_delay_alu instid0(VALU_DEP_3)
	v_add_nc_u64_e32 v[14:15], v[12:13], v[14:15]
	global_load_b32 v17, v[14:15], off offset:2
	s_branch .LBB7_14
.LBB7_13:                               ;   in Loop: Header=BB7_14 Depth=2
	s_or_b32 exec_lo, exec_lo, s1
	global_atomic_cmpswap_b32 v5, v[14:15], v[16:17], off offset:2 th:TH_ATOMIC_RETURN scope:SCOPE_DEV
	s_wait_loadcnt 0x0
	v_cmp_eq_u32_e64 s1, v17, v5
	v_mov_b32_e32 v17, v5
	s_or_b32 s8, s1, s8
	s_delay_alu instid0(SALU_CYCLE_1)
	s_and_not1_b32 exec_lo, exec_lo, s8
	s_cbranch_execz .LBB7_18
.LBB7_14:                               ;   Parent Loop BB7_6 Depth=1
                                        ; =>  This Inner Loop Header: Depth=2
	s_wait_loadcnt 0x0
	v_lshrrev_b32_e32 v5, 16, v17
	s_delay_alu instid0(VALU_DEP_1) | instskip(NEXT) | instid1(VALU_DEP_1)
	v_cndmask_b32_e32 v5, v5, v17, vcc_lo
	v_add_f16_e32 v5, v0, v5
	s_delay_alu instid0(VALU_DEP_1) | instskip(SKIP_1) | instid1(SALU_CYCLE_1)
	v_and_b32_e32 v5, 0xffff, v5
	s_and_saveexec_b32 s1, s0
	s_xor_b32 s1, exec_lo, s1
; %bb.15:                               ;   in Loop: Header=BB7_14 Depth=2
	v_and_b32_e32 v10, 0xffff, v17
	s_delay_alu instid0(VALU_DEP_1)
	v_lshl_or_b32 v16, v5, 16, v10
                                        ; implicit-def: $vgpr5
; %bb.16:                               ;   in Loop: Header=BB7_14 Depth=2
	s_and_not1_saveexec_b32 s1, s1
	s_cbranch_execz .LBB7_13
; %bb.17:                               ;   in Loop: Header=BB7_14 Depth=2
	v_and_or_b32 v16, 0xffff0000, v17, v5
	s_branch .LBB7_13
.LBB7_18:                               ;   in Loop: Header=BB7_6 Depth=1
	s_or_b32 exec_lo, exec_lo, s8
	v_add_nc_u32_e32 v0, 4, v12
	s_mov_b32 s8, 0
	s_delay_alu instid0(VALU_DEP_1) | instskip(NEXT) | instid1(VALU_DEP_1)
	v_and_b32_e32 v10, 2, v0
	v_sub_nc_u64_e32 v[14:15], 0, v[10:11]
	v_cmp_ne_u32_e64 s0, 0, v10
	v_cmp_eq_u32_e32 vcc_lo, 0, v10
	s_delay_alu instid0(VALU_DEP_3)
	v_add_nc_u64_e32 v[14:15], v[12:13], v[14:15]
	global_load_b32 v17, v[14:15], off offset:4
	s_branch .LBB7_20
.LBB7_19:                               ;   in Loop: Header=BB7_20 Depth=2
	s_or_b32 exec_lo, exec_lo, s1
	global_atomic_cmpswap_b32 v0, v[14:15], v[16:17], off offset:4 th:TH_ATOMIC_RETURN scope:SCOPE_DEV
	s_wait_loadcnt 0x0
	v_cmp_eq_u32_e64 s1, v17, v0
	v_mov_b32_e32 v17, v0
	s_or_b32 s8, s1, s8
	s_delay_alu instid0(SALU_CYCLE_1)
	s_and_not1_b32 exec_lo, exec_lo, s8
	s_cbranch_execz .LBB7_24
.LBB7_20:                               ;   Parent Loop BB7_6 Depth=1
                                        ; =>  This Inner Loop Header: Depth=2
	s_wait_loadcnt 0x0
	v_lshrrev_b32_e32 v0, 16, v17
	s_delay_alu instid0(VALU_DEP_1) | instskip(NEXT) | instid1(VALU_DEP_1)
	v_cndmask_b32_e32 v0, v0, v17, vcc_lo
	v_add_f16_e32 v0, v1, v0
	s_delay_alu instid0(VALU_DEP_1) | instskip(SKIP_1) | instid1(SALU_CYCLE_1)
	v_and_b32_e32 v0, 0xffff, v0
	s_and_saveexec_b32 s1, s0
	s_xor_b32 s1, exec_lo, s1
; %bb.21:                               ;   in Loop: Header=BB7_20 Depth=2
	v_and_b32_e32 v5, 0xffff, v17
	s_delay_alu instid0(VALU_DEP_1)
	v_lshl_or_b32 v16, v0, 16, v5
                                        ; implicit-def: $vgpr0
; %bb.22:                               ;   in Loop: Header=BB7_20 Depth=2
	s_and_not1_saveexec_b32 s1, s1
	s_cbranch_execz .LBB7_19
; %bb.23:                               ;   in Loop: Header=BB7_20 Depth=2
	v_and_or_b32 v16, 0xffff0000, v17, v0
	s_branch .LBB7_19
.LBB7_24:                               ;   in Loop: Header=BB7_6 Depth=1
	s_or_b32 exec_lo, exec_lo, s8
	v_add_nc_u32_e32 v0, 6, v12
	s_mov_b32 s8, 0
	s_delay_alu instid0(VALU_DEP_1) | instskip(NEXT) | instid1(VALU_DEP_1)
	v_dual_lshrrev_b32 v0, 16, v1 :: v_dual_bitop2_b32 v10, 2, v0 bitop3:0x40
	v_sub_nc_u64_e32 v[14:15], 0, v[10:11]
	v_cmp_ne_u32_e64 s0, 0, v10
	v_cmp_eq_u32_e32 vcc_lo, 0, v10
	s_delay_alu instid0(VALU_DEP_3)
	v_add_nc_u64_e32 v[14:15], v[12:13], v[14:15]
	global_load_b32 v17, v[14:15], off offset:6
	s_branch .LBB7_26
.LBB7_25:                               ;   in Loop: Header=BB7_26 Depth=2
	s_or_b32 exec_lo, exec_lo, s1
	global_atomic_cmpswap_b32 v1, v[14:15], v[16:17], off offset:6 th:TH_ATOMIC_RETURN scope:SCOPE_DEV
	s_wait_loadcnt 0x0
	v_cmp_eq_u32_e64 s1, v17, v1
	v_mov_b32_e32 v17, v1
	s_or_b32 s8, s1, s8
	s_delay_alu instid0(SALU_CYCLE_1)
	s_and_not1_b32 exec_lo, exec_lo, s8
	s_cbranch_execz .LBB7_30
.LBB7_26:                               ;   Parent Loop BB7_6 Depth=1
                                        ; =>  This Inner Loop Header: Depth=2
	s_wait_loadcnt 0x0
	v_lshrrev_b32_e32 v1, 16, v17
	s_delay_alu instid0(VALU_DEP_1) | instskip(NEXT) | instid1(VALU_DEP_1)
	v_cndmask_b32_e32 v1, v1, v17, vcc_lo
	v_add_f16_e32 v1, v0, v1
	s_delay_alu instid0(VALU_DEP_1) | instskip(SKIP_1) | instid1(SALU_CYCLE_1)
	v_and_b32_e32 v1, 0xffff, v1
	s_and_saveexec_b32 s1, s0
	s_xor_b32 s1, exec_lo, s1
; %bb.27:                               ;   in Loop: Header=BB7_26 Depth=2
	v_and_b32_e32 v5, 0xffff, v17
	s_delay_alu instid0(VALU_DEP_1)
	v_lshl_or_b32 v16, v1, 16, v5
                                        ; implicit-def: $vgpr1
; %bb.28:                               ;   in Loop: Header=BB7_26 Depth=2
	s_and_not1_saveexec_b32 s1, s1
	s_cbranch_execz .LBB7_25
; %bb.29:                               ;   in Loop: Header=BB7_26 Depth=2
	v_and_or_b32 v16, 0xffff0000, v17, v1
	s_branch .LBB7_25
.LBB7_30:                               ;   in Loop: Header=BB7_6 Depth=1
	s_or_b32 exec_lo, exec_lo, s8
	v_add_nc_u32_e32 v0, 8, v12
	s_mov_b32 s8, 0
	s_delay_alu instid0(VALU_DEP_1) | instskip(NEXT) | instid1(VALU_DEP_1)
	v_and_b32_e32 v10, 2, v0
	v_sub_nc_u64_e32 v[0:1], 0, v[10:11]
	v_cmp_ne_u32_e64 s0, 0, v10
	v_cmp_eq_u32_e32 vcc_lo, 0, v10
	s_delay_alu instid0(VALU_DEP_3)
	v_add_nc_u64_e32 v[0:1], v[12:13], v[0:1]
	global_load_b32 v15, v[0:1], off offset:8
	s_branch .LBB7_32
.LBB7_31:                               ;   in Loop: Header=BB7_32 Depth=2
	s_or_b32 exec_lo, exec_lo, s1
	global_atomic_cmpswap_b32 v5, v[0:1], v[14:15], off offset:8 th:TH_ATOMIC_RETURN scope:SCOPE_DEV
	s_wait_loadcnt 0x0
	v_cmp_eq_u32_e64 s1, v15, v5
	v_mov_b32_e32 v15, v5
	s_or_b32 s8, s1, s8
	s_delay_alu instid0(SALU_CYCLE_1)
	s_and_not1_b32 exec_lo, exec_lo, s8
	s_cbranch_execz .LBB7_36
.LBB7_32:                               ;   Parent Loop BB7_6 Depth=1
                                        ; =>  This Inner Loop Header: Depth=2
	s_wait_loadcnt 0x0
	v_lshrrev_b32_e32 v5, 16, v15
	s_delay_alu instid0(VALU_DEP_1) | instskip(NEXT) | instid1(VALU_DEP_1)
	v_cndmask_b32_e32 v5, v5, v15, vcc_lo
	v_add_f16_e32 v5, v2, v5
	s_delay_alu instid0(VALU_DEP_1) | instskip(SKIP_1) | instid1(SALU_CYCLE_1)
	v_and_b32_e32 v5, 0xffff, v5
	s_and_saveexec_b32 s1, s0
	s_xor_b32 s1, exec_lo, s1
; %bb.33:                               ;   in Loop: Header=BB7_32 Depth=2
	v_and_b32_e32 v10, 0xffff, v15
	s_delay_alu instid0(VALU_DEP_1)
	v_lshl_or_b32 v14, v5, 16, v10
                                        ; implicit-def: $vgpr5
; %bb.34:                               ;   in Loop: Header=BB7_32 Depth=2
	s_and_not1_saveexec_b32 s1, s1
	s_cbranch_execz .LBB7_31
; %bb.35:                               ;   in Loop: Header=BB7_32 Depth=2
	v_and_or_b32 v14, 0xffff0000, v15, v5
	s_branch .LBB7_31
.LBB7_36:                               ;   in Loop: Header=BB7_6 Depth=1
	s_or_b32 exec_lo, exec_lo, s8
	v_dual_add_nc_u32 v0, 10, v12 :: v_dual_lshrrev_b32 v2, 16, v2
	s_mov_b32 s8, 0
	s_delay_alu instid0(VALU_DEP_1) | instskip(NEXT) | instid1(VALU_DEP_1)
	v_and_b32_e32 v10, 2, v0
	v_sub_nc_u64_e32 v[0:1], 0, v[10:11]
	v_cmp_ne_u32_e64 s0, 0, v10
	v_cmp_eq_u32_e32 vcc_lo, 0, v10
	s_delay_alu instid0(VALU_DEP_3)
	v_add_nc_u64_e32 v[0:1], v[12:13], v[0:1]
	global_load_b32 v15, v[0:1], off offset:10
	s_branch .LBB7_38
.LBB7_37:                               ;   in Loop: Header=BB7_38 Depth=2
	s_or_b32 exec_lo, exec_lo, s1
	global_atomic_cmpswap_b32 v5, v[0:1], v[14:15], off offset:10 th:TH_ATOMIC_RETURN scope:SCOPE_DEV
	s_wait_loadcnt 0x0
	v_cmp_eq_u32_e64 s1, v15, v5
	v_mov_b32_e32 v15, v5
	s_or_b32 s8, s1, s8
	s_delay_alu instid0(SALU_CYCLE_1)
	s_and_not1_b32 exec_lo, exec_lo, s8
	s_cbranch_execz .LBB7_42
.LBB7_38:                               ;   Parent Loop BB7_6 Depth=1
                                        ; =>  This Inner Loop Header: Depth=2
	s_wait_loadcnt 0x0
	v_lshrrev_b32_e32 v5, 16, v15
	s_delay_alu instid0(VALU_DEP_1) | instskip(NEXT) | instid1(VALU_DEP_1)
	v_cndmask_b32_e32 v5, v5, v15, vcc_lo
	v_add_f16_e32 v5, v2, v5
	s_delay_alu instid0(VALU_DEP_1) | instskip(SKIP_1) | instid1(SALU_CYCLE_1)
	v_and_b32_e32 v5, 0xffff, v5
	s_and_saveexec_b32 s1, s0
	s_xor_b32 s1, exec_lo, s1
; %bb.39:                               ;   in Loop: Header=BB7_38 Depth=2
	v_and_b32_e32 v10, 0xffff, v15
	s_delay_alu instid0(VALU_DEP_1)
	v_lshl_or_b32 v14, v5, 16, v10
                                        ; implicit-def: $vgpr5
; %bb.40:                               ;   in Loop: Header=BB7_38 Depth=2
	s_and_not1_saveexec_b32 s1, s1
	s_cbranch_execz .LBB7_37
; %bb.41:                               ;   in Loop: Header=BB7_38 Depth=2
	v_and_or_b32 v14, 0xffff0000, v15, v5
	s_branch .LBB7_37
.LBB7_42:                               ;   in Loop: Header=BB7_6 Depth=1
	s_or_b32 exec_lo, exec_lo, s8
	v_add_nc_u32_e32 v0, 12, v12
	s_mov_b32 s8, 0
	s_delay_alu instid0(VALU_DEP_1) | instskip(NEXT) | instid1(VALU_DEP_1)
	v_and_b32_e32 v10, 2, v0
	v_sub_nc_u64_e32 v[0:1], 0, v[10:11]
	v_cmp_ne_u32_e64 s0, 0, v10
	v_cmp_eq_u32_e32 vcc_lo, 0, v10
	s_delay_alu instid0(VALU_DEP_3)
	v_add_nc_u64_e32 v[0:1], v[12:13], v[0:1]
	global_load_b32 v15, v[0:1], off offset:12
	s_branch .LBB7_44
.LBB7_43:                               ;   in Loop: Header=BB7_44 Depth=2
	s_or_b32 exec_lo, exec_lo, s1
	global_atomic_cmpswap_b32 v2, v[0:1], v[14:15], off offset:12 th:TH_ATOMIC_RETURN scope:SCOPE_DEV
	s_wait_loadcnt 0x0
	v_cmp_eq_u32_e64 s1, v15, v2
	v_mov_b32_e32 v15, v2
	s_or_b32 s8, s1, s8
	s_delay_alu instid0(SALU_CYCLE_1)
	s_and_not1_b32 exec_lo, exec_lo, s8
	s_cbranch_execz .LBB7_48
.LBB7_44:                               ;   Parent Loop BB7_6 Depth=1
                                        ; =>  This Inner Loop Header: Depth=2
	s_wait_loadcnt 0x0
	v_lshrrev_b32_e32 v2, 16, v15
	s_delay_alu instid0(VALU_DEP_1) | instskip(NEXT) | instid1(VALU_DEP_1)
	v_cndmask_b32_e32 v2, v2, v15, vcc_lo
	v_add_f16_e32 v2, v3, v2
	s_delay_alu instid0(VALU_DEP_1) | instskip(SKIP_1) | instid1(SALU_CYCLE_1)
	v_and_b32_e32 v2, 0xffff, v2
	s_and_saveexec_b32 s1, s0
	s_xor_b32 s1, exec_lo, s1
; %bb.45:                               ;   in Loop: Header=BB7_44 Depth=2
	v_and_b32_e32 v5, 0xffff, v15
	s_delay_alu instid0(VALU_DEP_1)
	v_lshl_or_b32 v14, v2, 16, v5
                                        ; implicit-def: $vgpr2
; %bb.46:                               ;   in Loop: Header=BB7_44 Depth=2
	s_and_not1_saveexec_b32 s1, s1
	s_cbranch_execz .LBB7_43
; %bb.47:                               ;   in Loop: Header=BB7_44 Depth=2
	v_and_or_b32 v14, 0xffff0000, v15, v2
	s_branch .LBB7_43
.LBB7_48:                               ;   in Loop: Header=BB7_6 Depth=1
	s_or_b32 exec_lo, exec_lo, s8
	v_dual_add_nc_u32 v0, 14, v12 :: v_dual_lshrrev_b32 v2, 16, v3
	s_mov_b32 s8, 0
	s_delay_alu instid0(VALU_DEP_1) | instskip(NEXT) | instid1(VALU_DEP_1)
	v_and_b32_e32 v10, 2, v0
	v_sub_nc_u64_e32 v[0:1], 0, v[10:11]
	v_cmp_ne_u32_e64 s0, 0, v10
	v_cmp_eq_u32_e32 vcc_lo, 0, v10
	s_delay_alu instid0(VALU_DEP_3)
	v_add_nc_u64_e32 v[0:1], v[12:13], v[0:1]
	global_load_b32 v13, v[0:1], off offset:14
	s_branch .LBB7_50
.LBB7_49:                               ;   in Loop: Header=BB7_50 Depth=2
	s_or_b32 exec_lo, exec_lo, s1
	global_atomic_cmpswap_b32 v3, v[0:1], v[12:13], off offset:14 th:TH_ATOMIC_RETURN scope:SCOPE_DEV
	s_wait_loadcnt 0x0
	v_cmp_eq_u32_e64 s1, v13, v3
	v_mov_b32_e32 v13, v3
	s_or_b32 s8, s1, s8
	s_delay_alu instid0(SALU_CYCLE_1)
	s_and_not1_b32 exec_lo, exec_lo, s8
	s_cbranch_execz .LBB7_5
.LBB7_50:                               ;   Parent Loop BB7_6 Depth=1
                                        ; =>  This Inner Loop Header: Depth=2
	s_wait_loadcnt 0x0
	v_lshrrev_b32_e32 v3, 16, v13
	s_delay_alu instid0(VALU_DEP_1) | instskip(NEXT) | instid1(VALU_DEP_1)
	v_cndmask_b32_e32 v3, v3, v13, vcc_lo
	v_add_f16_e32 v3, v2, v3
	s_delay_alu instid0(VALU_DEP_1) | instskip(SKIP_1) | instid1(SALU_CYCLE_1)
	v_and_b32_e32 v3, 0xffff, v3
	s_and_saveexec_b32 s1, s0
	s_xor_b32 s1, exec_lo, s1
; %bb.51:                               ;   in Loop: Header=BB7_50 Depth=2
	v_and_b32_e32 v5, 0xffff, v13
	s_delay_alu instid0(VALU_DEP_1)
	v_lshl_or_b32 v12, v3, 16, v5
                                        ; implicit-def: $vgpr3
; %bb.52:                               ;   in Loop: Header=BB7_50 Depth=2
	s_and_not1_saveexec_b32 s1, s1
	s_cbranch_execz .LBB7_49
; %bb.53:                               ;   in Loop: Header=BB7_50 Depth=2
	v_and_or_b32 v12, 0xffff0000, v13, v3
	s_branch .LBB7_49
.LBB7_54:
	s_or_b32 exec_lo, exec_lo, s7
	s_delay_alu instid0(SALU_CYCLE_1)
	s_or_not1_b32 s4, s6, exec_lo
.LBB7_55:
	s_or_b32 exec_lo, exec_lo, s3
	s_delay_alu instid0(SALU_CYCLE_1)
	s_and_b32 exec_lo, exec_lo, s4
	s_cbranch_execnz .LBB7_57
.LBB7_56:
	s_endpgm
.LBB7_57:
	s_trap 2
	; divergent unreachable
	s_endpgm
	.section	.rodata,"a",@progbits
	.p2align	6, 0x0
	.amdhsa_kernel _ZN2at6native29vectorized_scatter_add_kernelILi16EN3c104HalfEiEEvPT0_PKS4_PKT1_illllii
		.amdhsa_group_segment_fixed_size 0
		.amdhsa_private_segment_fixed_size 0
		.amdhsa_kernarg_size 328
		.amdhsa_user_sgpr_count 2
		.amdhsa_user_sgpr_dispatch_ptr 0
		.amdhsa_user_sgpr_queue_ptr 0
		.amdhsa_user_sgpr_kernarg_segment_ptr 1
		.amdhsa_user_sgpr_dispatch_id 0
		.amdhsa_user_sgpr_kernarg_preload_length 0
		.amdhsa_user_sgpr_kernarg_preload_offset 0
		.amdhsa_user_sgpr_private_segment_size 0
		.amdhsa_wavefront_size32 1
		.amdhsa_uses_dynamic_stack 0
		.amdhsa_enable_private_segment 0
		.amdhsa_system_sgpr_workgroup_id_x 1
		.amdhsa_system_sgpr_workgroup_id_y 1
		.amdhsa_system_sgpr_workgroup_id_z 0
		.amdhsa_system_sgpr_workgroup_info 0
		.amdhsa_system_vgpr_workitem_id 0
		.amdhsa_next_free_vgpr 20
		.amdhsa_next_free_sgpr 17
		.amdhsa_named_barrier_count 0
		.amdhsa_reserve_vcc 1
		.amdhsa_float_round_mode_32 0
		.amdhsa_float_round_mode_16_64 0
		.amdhsa_float_denorm_mode_32 3
		.amdhsa_float_denorm_mode_16_64 3
		.amdhsa_fp16_overflow 0
		.amdhsa_memory_ordered 1
		.amdhsa_forward_progress 1
		.amdhsa_inst_pref_size 18
		.amdhsa_round_robin_scheduling 0
		.amdhsa_exception_fp_ieee_invalid_op 0
		.amdhsa_exception_fp_denorm_src 0
		.amdhsa_exception_fp_ieee_div_zero 0
		.amdhsa_exception_fp_ieee_overflow 0
		.amdhsa_exception_fp_ieee_underflow 0
		.amdhsa_exception_fp_ieee_inexact 0
		.amdhsa_exception_int_div_zero 0
	.end_amdhsa_kernel
	.section	.text._ZN2at6native29vectorized_scatter_add_kernelILi16EN3c104HalfEiEEvPT0_PKS4_PKT1_illllii,"axG",@progbits,_ZN2at6native29vectorized_scatter_add_kernelILi16EN3c104HalfEiEEvPT0_PKS4_PKT1_illllii,comdat
.Lfunc_end7:
	.size	_ZN2at6native29vectorized_scatter_add_kernelILi16EN3c104HalfEiEEvPT0_PKS4_PKT1_illllii, .Lfunc_end7-_ZN2at6native29vectorized_scatter_add_kernelILi16EN3c104HalfEiEEvPT0_PKS4_PKT1_illllii
                                        ; -- End function
	.set _ZN2at6native29vectorized_scatter_add_kernelILi16EN3c104HalfEiEEvPT0_PKS4_PKT1_illllii.num_vgpr, 20
	.set _ZN2at6native29vectorized_scatter_add_kernelILi16EN3c104HalfEiEEvPT0_PKS4_PKT1_illllii.num_agpr, 0
	.set _ZN2at6native29vectorized_scatter_add_kernelILi16EN3c104HalfEiEEvPT0_PKS4_PKT1_illllii.numbered_sgpr, 17
	.set _ZN2at6native29vectorized_scatter_add_kernelILi16EN3c104HalfEiEEvPT0_PKS4_PKT1_illllii.num_named_barrier, 0
	.set _ZN2at6native29vectorized_scatter_add_kernelILi16EN3c104HalfEiEEvPT0_PKS4_PKT1_illllii.private_seg_size, 0
	.set _ZN2at6native29vectorized_scatter_add_kernelILi16EN3c104HalfEiEEvPT0_PKS4_PKT1_illllii.uses_vcc, 1
	.set _ZN2at6native29vectorized_scatter_add_kernelILi16EN3c104HalfEiEEvPT0_PKS4_PKT1_illllii.uses_flat_scratch, 0
	.set _ZN2at6native29vectorized_scatter_add_kernelILi16EN3c104HalfEiEEvPT0_PKS4_PKT1_illllii.has_dyn_sized_stack, 0
	.set _ZN2at6native29vectorized_scatter_add_kernelILi16EN3c104HalfEiEEvPT0_PKS4_PKT1_illllii.has_recursion, 0
	.set _ZN2at6native29vectorized_scatter_add_kernelILi16EN3c104HalfEiEEvPT0_PKS4_PKT1_illllii.has_indirect_call, 0
	.section	.AMDGPU.csdata,"",@progbits
; Kernel info:
; codeLenInByte = 2180
; TotalNumSgprs: 19
; NumVgprs: 20
; ScratchSize: 0
; MemoryBound: 0
; FloatMode: 240
; IeeeMode: 1
; LDSByteSize: 0 bytes/workgroup (compile time only)
; SGPRBlocks: 0
; VGPRBlocks: 1
; NumSGPRsForWavesPerEU: 19
; NumVGPRsForWavesPerEU: 20
; NamedBarCnt: 0
; Occupancy: 16
; WaveLimiterHint : 1
; COMPUTE_PGM_RSRC2:SCRATCH_EN: 0
; COMPUTE_PGM_RSRC2:USER_SGPR: 2
; COMPUTE_PGM_RSRC2:TRAP_HANDLER: 0
; COMPUTE_PGM_RSRC2:TGID_X_EN: 1
; COMPUTE_PGM_RSRC2:TGID_Y_EN: 1
; COMPUTE_PGM_RSRC2:TGID_Z_EN: 0
; COMPUTE_PGM_RSRC2:TIDIG_COMP_CNT: 0
	.section	.text._ZN2at6native29vectorized_scatter_add_kernelILi16EN3c108BFloat16ElEEvPT0_PKS4_PKT1_illllii,"axG",@progbits,_ZN2at6native29vectorized_scatter_add_kernelILi16EN3c108BFloat16ElEEvPT0_PKS4_PKT1_illllii,comdat
	.protected	_ZN2at6native29vectorized_scatter_add_kernelILi16EN3c108BFloat16ElEEvPT0_PKS4_PKT1_illllii ; -- Begin function _ZN2at6native29vectorized_scatter_add_kernelILi16EN3c108BFloat16ElEEvPT0_PKS4_PKT1_illllii
	.globl	_ZN2at6native29vectorized_scatter_add_kernelILi16EN3c108BFloat16ElEEvPT0_PKS4_PKT1_illllii
	.p2align	8
	.type	_ZN2at6native29vectorized_scatter_add_kernelILi16EN3c108BFloat16ElEEvPT0_PKS4_PKT1_illllii,@function
_ZN2at6native29vectorized_scatter_add_kernelILi16EN3c108BFloat16ElEEvPT0_PKS4_PKT1_illllii: ; @_ZN2at6native29vectorized_scatter_add_kernelILi16EN3c108BFloat16ElEEvPT0_PKS4_PKT1_illllii
; %bb.0:
	s_load_b64 s[2:3], s[0:1], 0x40
	s_bfe_u32 s6, ttmp6, 0x4000c
	s_getreg_b32 s12, hwreg(HW_REG_IB_STS2, 6, 4)
	s_add_co_i32 s6, s6, 1
	s_delay_alu instid0(SALU_CYCLE_1) | instskip(SKIP_3) | instid1(SALU_CYCLE_2)
	s_mul_i32 s6, ttmp9, s6
	s_wait_kmcnt 0x0
	s_cvt_f32_u32 s4, s2
	s_sub_co_i32 s5, 0, s2
	v_rcp_iflag_f32_e32 v1, s4
	v_nop
	s_delay_alu instid0(TRANS32_DEP_1) | instskip(SKIP_1) | instid1(SALU_CYCLE_3)
	v_readfirstlane_b32 s4, v1
	s_mul_f32 s4, s4, 0x4f7ffffe
	s_cvt_u32_f32 s4, s4
	s_delay_alu instid0(SALU_CYCLE_3) | instskip(NEXT) | instid1(SALU_CYCLE_1)
	s_mul_i32 s5, s5, s4
	s_mul_hi_u32 s5, s4, s5
	s_delay_alu instid0(SALU_CYCLE_1)
	s_add_co_i32 s4, s4, s5
	s_and_b32 s5, ttmp6, 15
	v_mul_hi_u32 v1, v0, s4
	s_load_b32 s4, s[0:1], 0x18
	s_add_co_i32 s5, s5, s6
	s_cmp_eq_u32 s12, 0
	s_cselect_b32 s5, ttmp9, s5
	s_delay_alu instid0(VALU_DEP_1) | instskip(NEXT) | instid1(VALU_DEP_1)
	v_mul_lo_u32 v2, v1, s2
	v_dual_add_nc_u32 v3, 1, v1 :: v_dual_sub_nc_u32 v2, v0, v2
	s_delay_alu instid0(VALU_DEP_1) | instskip(SKIP_1) | instid1(VALU_DEP_2)
	v_subrev_nc_u32_e32 v4, s2, v2
	v_cmp_le_u32_e32 vcc_lo, s2, v2
	v_dual_cndmask_b32 v1, v1, v3 :: v_dual_cndmask_b32 v2, v2, v4
	s_delay_alu instid0(VALU_DEP_1) | instskip(NEXT) | instid1(VALU_DEP_2)
	v_add_nc_u32_e32 v3, 1, v1
	v_cmp_le_u32_e32 vcc_lo, s2, v2
	s_delay_alu instid0(VALU_DEP_2) | instskip(NEXT) | instid1(VALU_DEP_1)
	v_cndmask_b32_e32 v4, v1, v3, vcc_lo
	v_mad_u32 v1, s3, s5, v4
	s_mov_b32 s3, exec_lo
	s_wait_kmcnt 0x0
	s_delay_alu instid0(VALU_DEP_1)
	v_cmpx_gt_i32_e64 s4, v1
	s_cbranch_execz .LBB8_24
; %bb.1:
	s_load_b64 s[4:5], s[0:1], 0x10
	s_mov_b32 s3, exec_lo
	s_wait_kmcnt 0x0
	global_load_b64 v[2:3], v1, s[4:5] scale_offset
	s_wait_xcnt 0x0
	s_mov_b32 s4, -1
	s_wait_loadcnt 0x0
	v_cmpx_lt_i64_e32 -1, v[2:3]
	s_cbranch_execz .LBB8_23
; %bb.2:
	s_load_b256 s[4:11], s[0:1], 0x20
	s_get_pc_i64 s[14:15]
	s_add_nc_u64 s[14:15], s[14:15], .str.1@rel64+4
	s_delay_alu instid0(SALU_CYCLE_1) | instskip(SKIP_3) | instid1(SALU_CYCLE_1)
	s_cmp_eq_u64 s[14:15], 0
	s_wait_kmcnt 0x0
	v_cmp_le_i64_e32 vcc_lo, s[6:7], v[2:3]
	s_cselect_b32 s6, -1, 0
	s_or_b32 s6, vcc_lo, s6
	s_delay_alu instid0(SALU_CYCLE_1) | instskip(NEXT) | instid1(SALU_CYCLE_1)
	s_xor_b32 s11, s6, -1
	s_and_saveexec_b32 s7, s11
	s_cbranch_execz .LBB8_22
; %bb.3:
	s_bfe_u32 s11, ttmp6, 0x40010
	s_bfe_u32 s13, ttmp6, 0x40004
	s_add_co_i32 s11, s11, 1
	s_delay_alu instid0(SALU_CYCLE_1) | instskip(NEXT) | instid1(SALU_CYCLE_1)
	s_mul_i32 s11, ttmp7, s11
	s_add_co_i32 s13, s13, s11
	s_cmp_eq_u32 s12, 0
	s_cselect_b32 s11, ttmp7, s13
	s_delay_alu instid0(SALU_CYCLE_1) | instskip(SKIP_1) | instid1(VALU_DEP_1)
	v_sub_nc_u32_e32 v4, s11, v4
	s_mov_b32 s11, 0
	v_mul_lo_u32 v4, v4, s2
	s_delay_alu instid0(VALU_DEP_1) | instskip(NEXT) | instid1(VALU_DEP_1)
	v_add_lshl_u32 v4, v4, v0, 4
	v_ashrrev_i32_e32 v5, 31, v4
	s_delay_alu instid0(VALU_DEP_1)
	v_cmp_gt_i64_e32 vcc_lo, s[4:5], v[4:5]
	s_and_b32 exec_lo, exec_lo, vcc_lo
	s_cbranch_execz .LBB8_22
; %bb.4:
	s_clause 0x1
	s_load_b128 s[12:15], s[0:1], 0x0
	s_load_b32 s16, s[0:1], 0x4c
	v_mul_lo_u32 v0, v1, s10
	s_delay_alu instid0(VALU_DEP_1) | instskip(SKIP_2) | instid1(VALU_DEP_2)
	v_dual_mov_b32 v11, 0 :: v_dual_ashrrev_i32 v1, 31, v0
	s_wait_kmcnt 0x0
	v_mad_nc_u64_u32 v[6:7], v2, s8, s[12:13]
	v_add_nc_u64_e32 v[8:9], s[14:15], v[0:1]
	s_mul_i32 s0, s2, s16
	s_delay_alu instid0(SALU_CYCLE_1) | instskip(NEXT) | instid1(VALU_DEP_2)
	s_lshl_b32 s1, s0, 4
	v_mad_u32 v3, v3, s8, v7
	s_delay_alu instid0(VALU_DEP_1)
	v_mad_u32 v7, v2, s9, v3
.LBB8_5:                                ; =>This Loop Header: Depth=1
                                        ;     Child Loop BB8_6 Depth 2
                                        ;     Child Loop BB8_8 Depth 2
	;; [unrolled: 1-line block ×8, first 2 shown]
	s_delay_alu instid0(VALU_DEP_1) | instskip(NEXT) | instid1(VALU_DEP_4)
	v_add_nc_u64_e32 v[12:13], v[6:7], v[4:5]
	v_add_nc_u64_e32 v[18:19], v[8:9], v[4:5]
	s_mov_b32 s2, 0
	s_delay_alu instid0(VALU_DEP_2) | instskip(NEXT) | instid1(VALU_DEP_1)
	v_and_b32_e32 v10, 2, v12
	v_sub_nc_u64_e32 v[0:1], 0, v[10:11]
	v_cmp_eq_u64_e32 vcc_lo, 0, v[10:11]
	s_delay_alu instid0(VALU_DEP_2)
	v_add_nc_u64_e32 v[14:15], v[12:13], v[0:1]
	global_load_b128 v[0:3], v[18:19], off
	global_load_b32 v17, v[14:15], off
	s_wait_loadcnt 0x1
	v_lshlrev_b32_e32 v5, 16, v0
.LBB8_6:                                ;   Parent Loop BB8_5 Depth=1
                                        ; =>  This Inner Loop Header: Depth=2
	s_wait_loadcnt 0x0
	v_lshrrev_b32_e32 v10, 16, v17
	v_and_b32_e32 v16, 0xffff, v17
	s_delay_alu instid0(VALU_DEP_1) | instskip(NEXT) | instid1(VALU_DEP_1)
	v_cndmask_b32_e32 v10, v10, v16, vcc_lo
	v_lshlrev_b32_e32 v10, 16, v10
	s_delay_alu instid0(VALU_DEP_1) | instskip(NEXT) | instid1(VALU_DEP_1)
	v_add_f32_e32 v10, v5, v10
	v_bfe_u32 v18, v10, 16, 1
	v_cmp_o_f32_e64 s0, v10, v10
	s_delay_alu instid0(VALU_DEP_2) | instskip(NEXT) | instid1(VALU_DEP_1)
	v_add3_u32 v18, v10, v18, 0x7fff
	v_lshrrev_b32_e32 v18, 16, v18
	s_delay_alu instid0(VALU_DEP_1) | instskip(NEXT) | instid1(VALU_DEP_1)
	v_cndmask_b32_e64 v10, 0x7fc0, v18, s0
	v_lshl_or_b32 v16, v10, 16, v16
	v_and_or_b32 v10, 0xffff0000, v17, v10
	s_delay_alu instid0(VALU_DEP_1)
	v_cndmask_b32_e32 v16, v16, v10, vcc_lo
	global_atomic_cmpswap_b32 v10, v[14:15], v[16:17], off th:TH_ATOMIC_RETURN scope:SCOPE_DEV
	s_wait_loadcnt 0x0
	v_cmp_eq_u32_e64 s0, v17, v10
	v_mov_b32_e32 v17, v10
	s_or_b32 s2, s0, s2
	s_delay_alu instid0(SALU_CYCLE_1)
	s_and_not1_b32 exec_lo, exec_lo, s2
	s_cbranch_execnz .LBB8_6
; %bb.7:                                ;   in Loop: Header=BB8_5 Depth=1
	s_or_b32 exec_lo, exec_lo, s2
	v_add_nc_u32_e32 v5, 2, v12
	s_mov_b32 s2, 0
	s_delay_alu instid0(VALU_DEP_1) | instskip(SKIP_1) | instid1(VALU_DEP_2)
	v_and_b32_e32 v10, 2, v5
	v_and_b32_e32 v5, 0xffff0000, v0
	v_sub_nc_u64_e32 v[14:15], 0, v[10:11]
	v_cmp_eq_u32_e32 vcc_lo, 0, v10
	s_delay_alu instid0(VALU_DEP_2)
	v_add_nc_u64_e32 v[14:15], v[12:13], v[14:15]
	global_load_b32 v17, v[14:15], off offset:2
.LBB8_8:                                ;   Parent Loop BB8_5 Depth=1
                                        ; =>  This Inner Loop Header: Depth=2
	s_wait_loadcnt 0x0
	v_lshrrev_b32_e32 v10, 16, v17
	v_and_b32_e32 v16, 0xffff, v17
	s_delay_alu instid0(VALU_DEP_1) | instskip(NEXT) | instid1(VALU_DEP_1)
	v_cndmask_b32_e32 v10, v10, v16, vcc_lo
	v_lshlrev_b32_e32 v10, 16, v10
	s_delay_alu instid0(VALU_DEP_1) | instskip(NEXT) | instid1(VALU_DEP_1)
	v_add_f32_e32 v10, v5, v10
	v_bfe_u32 v18, v10, 16, 1
	v_cmp_o_f32_e64 s0, v10, v10
	s_delay_alu instid0(VALU_DEP_2) | instskip(NEXT) | instid1(VALU_DEP_1)
	v_add3_u32 v18, v10, v18, 0x7fff
	v_lshrrev_b32_e32 v18, 16, v18
	s_delay_alu instid0(VALU_DEP_1) | instskip(NEXT) | instid1(VALU_DEP_1)
	v_cndmask_b32_e64 v10, 0x7fc0, v18, s0
	v_lshl_or_b32 v16, v10, 16, v16
	v_and_or_b32 v10, 0xffff0000, v17, v10
	s_delay_alu instid0(VALU_DEP_1)
	v_cndmask_b32_e32 v16, v16, v10, vcc_lo
	global_atomic_cmpswap_b32 v10, v[14:15], v[16:17], off offset:2 th:TH_ATOMIC_RETURN scope:SCOPE_DEV
	s_wait_loadcnt 0x0
	v_cmp_eq_u32_e64 s0, v17, v10
	v_mov_b32_e32 v17, v10
	s_or_b32 s2, s0, s2
	s_delay_alu instid0(SALU_CYCLE_1)
	s_and_not1_b32 exec_lo, exec_lo, s2
	s_cbranch_execnz .LBB8_8
; %bb.9:                                ;   in Loop: Header=BB8_5 Depth=1
	s_or_b32 exec_lo, exec_lo, s2
	v_add_nc_u32_e32 v5, 4, v12
	v_alignbit_b32 v0, v1, v0, 16
	s_mov_b32 s2, 0
	s_delay_alu instid0(VALU_DEP_2) | instskip(NEXT) | instid1(VALU_DEP_2)
	v_and_b32_e32 v10, 2, v5
	v_and_b32_e32 v0, 0xffff0000, v0
	s_delay_alu instid0(VALU_DEP_2) | instskip(SKIP_1) | instid1(VALU_DEP_2)
	v_sub_nc_u64_e32 v[14:15], 0, v[10:11]
	v_cmp_eq_u32_e32 vcc_lo, 0, v10
	v_add_nc_u64_e32 v[14:15], v[12:13], v[14:15]
	global_load_b32 v17, v[14:15], off offset:4
.LBB8_10:                               ;   Parent Loop BB8_5 Depth=1
                                        ; =>  This Inner Loop Header: Depth=2
	s_wait_loadcnt 0x0
	v_lshrrev_b32_e32 v5, 16, v17
	v_and_b32_e32 v10, 0xffff, v17
	s_delay_alu instid0(VALU_DEP_1) | instskip(NEXT) | instid1(VALU_DEP_1)
	v_cndmask_b32_e32 v5, v5, v10, vcc_lo
	v_lshlrev_b32_e32 v5, 16, v5
	s_delay_alu instid0(VALU_DEP_1) | instskip(NEXT) | instid1(VALU_DEP_1)
	v_add_f32_e32 v5, v0, v5
	v_bfe_u32 v16, v5, 16, 1
	v_cmp_o_f32_e64 s0, v5, v5
	s_delay_alu instid0(VALU_DEP_2) | instskip(NEXT) | instid1(VALU_DEP_1)
	v_add3_u32 v16, v5, v16, 0x7fff
	v_lshrrev_b32_e32 v16, 16, v16
	s_delay_alu instid0(VALU_DEP_1) | instskip(NEXT) | instid1(VALU_DEP_1)
	v_cndmask_b32_e64 v5, 0x7fc0, v16, s0
	v_lshl_or_b32 v10, v5, 16, v10
	v_and_or_b32 v5, 0xffff0000, v17, v5
	s_delay_alu instid0(VALU_DEP_1)
	v_cndmask_b32_e32 v16, v10, v5, vcc_lo
	global_atomic_cmpswap_b32 v5, v[14:15], v[16:17], off offset:4 th:TH_ATOMIC_RETURN scope:SCOPE_DEV
	s_wait_loadcnt 0x0
	v_cmp_eq_u32_e64 s0, v17, v5
	v_mov_b32_e32 v17, v5
	s_or_b32 s2, s0, s2
	s_delay_alu instid0(SALU_CYCLE_1)
	s_and_not1_b32 exec_lo, exec_lo, s2
	s_cbranch_execnz .LBB8_10
; %bb.11:                               ;   in Loop: Header=BB8_5 Depth=1
	s_or_b32 exec_lo, exec_lo, s2
	v_add_nc_u32_e32 v0, 6, v12
	s_mov_b32 s2, 0
	s_delay_alu instid0(VALU_DEP_1) | instskip(SKIP_1) | instid1(VALU_DEP_2)
	v_and_b32_e32 v10, 2, v0
	v_and_b32_e32 v0, 0xffff0000, v1
	v_sub_nc_u64_e32 v[14:15], 0, v[10:11]
	v_cmp_eq_u32_e32 vcc_lo, 0, v10
	s_delay_alu instid0(VALU_DEP_2)
	v_add_nc_u64_e32 v[14:15], v[12:13], v[14:15]
	global_load_b32 v17, v[14:15], off offset:6
.LBB8_12:                               ;   Parent Loop BB8_5 Depth=1
                                        ; =>  This Inner Loop Header: Depth=2
	s_wait_loadcnt 0x0
	v_lshrrev_b32_e32 v1, 16, v17
	v_and_b32_e32 v5, 0xffff, v17
	s_delay_alu instid0(VALU_DEP_1) | instskip(NEXT) | instid1(VALU_DEP_1)
	v_cndmask_b32_e32 v1, v1, v5, vcc_lo
	v_lshlrev_b32_e32 v1, 16, v1
	s_delay_alu instid0(VALU_DEP_1) | instskip(NEXT) | instid1(VALU_DEP_1)
	v_add_f32_e32 v1, v0, v1
	v_bfe_u32 v10, v1, 16, 1
	v_cmp_o_f32_e64 s0, v1, v1
	s_delay_alu instid0(VALU_DEP_2) | instskip(NEXT) | instid1(VALU_DEP_1)
	v_add3_u32 v10, v1, v10, 0x7fff
	v_lshrrev_b32_e32 v10, 16, v10
	s_delay_alu instid0(VALU_DEP_1) | instskip(NEXT) | instid1(VALU_DEP_1)
	v_cndmask_b32_e64 v1, 0x7fc0, v10, s0
	v_lshl_or_b32 v5, v1, 16, v5
	v_and_or_b32 v1, 0xffff0000, v17, v1
	s_delay_alu instid0(VALU_DEP_1)
	v_cndmask_b32_e32 v16, v5, v1, vcc_lo
	global_atomic_cmpswap_b32 v1, v[14:15], v[16:17], off offset:6 th:TH_ATOMIC_RETURN scope:SCOPE_DEV
	s_wait_loadcnt 0x0
	v_cmp_eq_u32_e64 s0, v17, v1
	v_mov_b32_e32 v17, v1
	s_or_b32 s2, s0, s2
	s_delay_alu instid0(SALU_CYCLE_1)
	s_and_not1_b32 exec_lo, exec_lo, s2
	s_cbranch_execnz .LBB8_12
; %bb.13:                               ;   in Loop: Header=BB8_5 Depth=1
	s_or_b32 exec_lo, exec_lo, s2
	v_dual_add_nc_u32 v0, 8, v12 :: v_dual_lshlrev_b32 v5, 16, v2
	s_mov_b32 s2, 0
	s_delay_alu instid0(VALU_DEP_1) | instskip(NEXT) | instid1(VALU_DEP_1)
	v_and_b32_e32 v10, 2, v0
	v_sub_nc_u64_e32 v[0:1], 0, v[10:11]
	v_cmp_eq_u32_e32 vcc_lo, 0, v10
	s_delay_alu instid0(VALU_DEP_2)
	v_add_nc_u64_e32 v[0:1], v[12:13], v[0:1]
	global_load_b32 v15, v[0:1], off offset:8
.LBB8_14:                               ;   Parent Loop BB8_5 Depth=1
                                        ; =>  This Inner Loop Header: Depth=2
	s_wait_loadcnt 0x0
	v_lshrrev_b32_e32 v10, 16, v15
	v_and_b32_e32 v14, 0xffff, v15
	s_delay_alu instid0(VALU_DEP_1) | instskip(NEXT) | instid1(VALU_DEP_1)
	v_cndmask_b32_e32 v10, v10, v14, vcc_lo
	v_lshlrev_b32_e32 v10, 16, v10
	s_delay_alu instid0(VALU_DEP_1) | instskip(NEXT) | instid1(VALU_DEP_1)
	v_add_f32_e32 v10, v5, v10
	v_bfe_u32 v16, v10, 16, 1
	v_cmp_o_f32_e64 s0, v10, v10
	s_delay_alu instid0(VALU_DEP_2) | instskip(NEXT) | instid1(VALU_DEP_1)
	v_add3_u32 v16, v10, v16, 0x7fff
	v_lshrrev_b32_e32 v16, 16, v16
	s_delay_alu instid0(VALU_DEP_1) | instskip(NEXT) | instid1(VALU_DEP_1)
	v_cndmask_b32_e64 v10, 0x7fc0, v16, s0
	v_lshl_or_b32 v14, v10, 16, v14
	v_and_or_b32 v10, 0xffff0000, v15, v10
	s_delay_alu instid0(VALU_DEP_1)
	v_cndmask_b32_e32 v14, v14, v10, vcc_lo
	global_atomic_cmpswap_b32 v10, v[0:1], v[14:15], off offset:8 th:TH_ATOMIC_RETURN scope:SCOPE_DEV
	s_wait_loadcnt 0x0
	v_cmp_eq_u32_e64 s0, v15, v10
	v_mov_b32_e32 v15, v10
	s_or_b32 s2, s0, s2
	s_delay_alu instid0(SALU_CYCLE_1)
	s_and_not1_b32 exec_lo, exec_lo, s2
	s_cbranch_execnz .LBB8_14
; %bb.15:                               ;   in Loop: Header=BB8_5 Depth=1
	s_or_b32 exec_lo, exec_lo, s2
	v_add_nc_u32_e32 v0, 10, v12
	v_and_b32_e32 v5, 0xffff0000, v2
	s_mov_b32 s2, 0
	s_delay_alu instid0(VALU_DEP_2) | instskip(NEXT) | instid1(VALU_DEP_1)
	v_and_b32_e32 v10, 2, v0
	v_sub_nc_u64_e32 v[0:1], 0, v[10:11]
	v_cmp_eq_u32_e32 vcc_lo, 0, v10
	s_delay_alu instid0(VALU_DEP_2)
	v_add_nc_u64_e32 v[0:1], v[12:13], v[0:1]
	global_load_b32 v15, v[0:1], off offset:10
.LBB8_16:                               ;   Parent Loop BB8_5 Depth=1
                                        ; =>  This Inner Loop Header: Depth=2
	s_wait_loadcnt 0x0
	v_lshrrev_b32_e32 v10, 16, v15
	v_and_b32_e32 v14, 0xffff, v15
	s_delay_alu instid0(VALU_DEP_1) | instskip(NEXT) | instid1(VALU_DEP_1)
	v_cndmask_b32_e32 v10, v10, v14, vcc_lo
	v_lshlrev_b32_e32 v10, 16, v10
	s_delay_alu instid0(VALU_DEP_1) | instskip(NEXT) | instid1(VALU_DEP_1)
	v_add_f32_e32 v10, v5, v10
	v_bfe_u32 v16, v10, 16, 1
	v_cmp_o_f32_e64 s0, v10, v10
	s_delay_alu instid0(VALU_DEP_2) | instskip(NEXT) | instid1(VALU_DEP_1)
	v_add3_u32 v16, v10, v16, 0x7fff
	v_lshrrev_b32_e32 v16, 16, v16
	s_delay_alu instid0(VALU_DEP_1) | instskip(NEXT) | instid1(VALU_DEP_1)
	v_cndmask_b32_e64 v10, 0x7fc0, v16, s0
	v_lshl_or_b32 v14, v10, 16, v14
	v_and_or_b32 v10, 0xffff0000, v15, v10
	s_delay_alu instid0(VALU_DEP_1)
	v_cndmask_b32_e32 v14, v14, v10, vcc_lo
	global_atomic_cmpswap_b32 v10, v[0:1], v[14:15], off offset:10 th:TH_ATOMIC_RETURN scope:SCOPE_DEV
	s_wait_loadcnt 0x0
	v_cmp_eq_u32_e64 s0, v15, v10
	v_mov_b32_e32 v15, v10
	s_or_b32 s2, s0, s2
	s_delay_alu instid0(SALU_CYCLE_1)
	s_and_not1_b32 exec_lo, exec_lo, s2
	s_cbranch_execnz .LBB8_16
; %bb.17:                               ;   in Loop: Header=BB8_5 Depth=1
	s_or_b32 exec_lo, exec_lo, s2
	v_add_nc_u32_e32 v0, 12, v12
	v_alignbit_b32 v2, v3, v2, 16
	s_mov_b32 s2, 0
	s_delay_alu instid0(VALU_DEP_2) | instskip(NEXT) | instid1(VALU_DEP_2)
	v_and_b32_e32 v10, 2, v0
	v_and_b32_e32 v2, 0xffff0000, v2
	s_delay_alu instid0(VALU_DEP_2) | instskip(SKIP_1) | instid1(VALU_DEP_2)
	v_sub_nc_u64_e32 v[0:1], 0, v[10:11]
	v_cmp_eq_u32_e32 vcc_lo, 0, v10
	v_add_nc_u64_e32 v[0:1], v[12:13], v[0:1]
	global_load_b32 v15, v[0:1], off offset:12
.LBB8_18:                               ;   Parent Loop BB8_5 Depth=1
                                        ; =>  This Inner Loop Header: Depth=2
	s_wait_loadcnt 0x0
	v_lshrrev_b32_e32 v5, 16, v15
	v_and_b32_e32 v10, 0xffff, v15
	s_delay_alu instid0(VALU_DEP_1) | instskip(NEXT) | instid1(VALU_DEP_1)
	v_cndmask_b32_e32 v5, v5, v10, vcc_lo
	v_lshlrev_b32_e32 v5, 16, v5
	s_delay_alu instid0(VALU_DEP_1) | instskip(NEXT) | instid1(VALU_DEP_1)
	v_add_f32_e32 v5, v2, v5
	v_bfe_u32 v14, v5, 16, 1
	v_cmp_o_f32_e64 s0, v5, v5
	s_delay_alu instid0(VALU_DEP_2) | instskip(NEXT) | instid1(VALU_DEP_1)
	v_add3_u32 v14, v5, v14, 0x7fff
	v_lshrrev_b32_e32 v14, 16, v14
	s_delay_alu instid0(VALU_DEP_1) | instskip(NEXT) | instid1(VALU_DEP_1)
	v_cndmask_b32_e64 v5, 0x7fc0, v14, s0
	v_lshl_or_b32 v10, v5, 16, v10
	v_and_or_b32 v5, 0xffff0000, v15, v5
	s_delay_alu instid0(VALU_DEP_1)
	v_cndmask_b32_e32 v14, v10, v5, vcc_lo
	global_atomic_cmpswap_b32 v5, v[0:1], v[14:15], off offset:12 th:TH_ATOMIC_RETURN scope:SCOPE_DEV
	s_wait_loadcnt 0x0
	v_cmp_eq_u32_e64 s0, v15, v5
	v_mov_b32_e32 v15, v5
	s_or_b32 s2, s0, s2
	s_delay_alu instid0(SALU_CYCLE_1)
	s_and_not1_b32 exec_lo, exec_lo, s2
	s_cbranch_execnz .LBB8_18
; %bb.19:                               ;   in Loop: Header=BB8_5 Depth=1
	s_or_b32 exec_lo, exec_lo, s2
	v_add_nc_u32_e32 v0, 14, v12
	v_and_b32_e32 v2, 0xffff0000, v3
	s_mov_b32 s2, 0
	s_delay_alu instid0(VALU_DEP_2) | instskip(NEXT) | instid1(VALU_DEP_1)
	v_and_b32_e32 v10, 2, v0
	v_sub_nc_u64_e32 v[0:1], 0, v[10:11]
	v_cmp_eq_u32_e32 vcc_lo, 0, v10
	s_delay_alu instid0(VALU_DEP_2)
	v_add_nc_u64_e32 v[0:1], v[12:13], v[0:1]
	global_load_b32 v13, v[0:1], off offset:14
.LBB8_20:                               ;   Parent Loop BB8_5 Depth=1
                                        ; =>  This Inner Loop Header: Depth=2
	s_wait_loadcnt 0x0
	v_lshrrev_b32_e32 v3, 16, v13
	v_and_b32_e32 v5, 0xffff, v13
	s_delay_alu instid0(VALU_DEP_1) | instskip(NEXT) | instid1(VALU_DEP_1)
	v_cndmask_b32_e32 v3, v3, v5, vcc_lo
	v_lshlrev_b32_e32 v3, 16, v3
	s_delay_alu instid0(VALU_DEP_1) | instskip(NEXT) | instid1(VALU_DEP_1)
	v_add_f32_e32 v3, v2, v3
	v_bfe_u32 v10, v3, 16, 1
	v_cmp_o_f32_e64 s0, v3, v3
	s_delay_alu instid0(VALU_DEP_2) | instskip(NEXT) | instid1(VALU_DEP_1)
	v_add3_u32 v10, v3, v10, 0x7fff
	v_lshrrev_b32_e32 v10, 16, v10
	s_delay_alu instid0(VALU_DEP_1) | instskip(NEXT) | instid1(VALU_DEP_1)
	v_cndmask_b32_e64 v3, 0x7fc0, v10, s0
	v_lshl_or_b32 v5, v3, 16, v5
	v_and_or_b32 v3, 0xffff0000, v13, v3
	s_delay_alu instid0(VALU_DEP_1)
	v_cndmask_b32_e32 v12, v5, v3, vcc_lo
	global_atomic_cmpswap_b32 v3, v[0:1], v[12:13], off offset:14 th:TH_ATOMIC_RETURN scope:SCOPE_DEV
	s_wait_loadcnt 0x0
	v_cmp_eq_u32_e64 s0, v13, v3
	v_mov_b32_e32 v13, v3
	s_or_b32 s2, s0, s2
	s_delay_alu instid0(SALU_CYCLE_1)
	s_and_not1_b32 exec_lo, exec_lo, s2
	s_cbranch_execnz .LBB8_20
; %bb.21:                               ;   in Loop: Header=BB8_5 Depth=1
	s_or_b32 exec_lo, exec_lo, s2
	v_add_nc_u32_e32 v4, s1, v4
	s_delay_alu instid0(VALU_DEP_1) | instskip(NEXT) | instid1(VALU_DEP_1)
	v_ashrrev_i32_e32 v5, 31, v4
	v_cmp_le_i64_e32 vcc_lo, s[4:5], v[4:5]
	s_or_b32 s11, vcc_lo, s11
	s_delay_alu instid0(SALU_CYCLE_1)
	s_and_not1_b32 exec_lo, exec_lo, s11
	s_cbranch_execnz .LBB8_5
.LBB8_22:
	s_or_b32 exec_lo, exec_lo, s7
	s_delay_alu instid0(SALU_CYCLE_1)
	s_or_not1_b32 s4, s6, exec_lo
.LBB8_23:
	s_or_b32 exec_lo, exec_lo, s3
	s_delay_alu instid0(SALU_CYCLE_1)
	s_and_b32 exec_lo, exec_lo, s4
	s_cbranch_execnz .LBB8_25
.LBB8_24:
	s_endpgm
.LBB8_25:
	s_trap 2
	; divergent unreachable
	s_endpgm
	.section	.rodata,"a",@progbits
	.p2align	6, 0x0
	.amdhsa_kernel _ZN2at6native29vectorized_scatter_add_kernelILi16EN3c108BFloat16ElEEvPT0_PKS4_PKT1_illllii
		.amdhsa_group_segment_fixed_size 0
		.amdhsa_private_segment_fixed_size 0
		.amdhsa_kernarg_size 328
		.amdhsa_user_sgpr_count 2
		.amdhsa_user_sgpr_dispatch_ptr 0
		.amdhsa_user_sgpr_queue_ptr 0
		.amdhsa_user_sgpr_kernarg_segment_ptr 1
		.amdhsa_user_sgpr_dispatch_id 0
		.amdhsa_user_sgpr_kernarg_preload_length 0
		.amdhsa_user_sgpr_kernarg_preload_offset 0
		.amdhsa_user_sgpr_private_segment_size 0
		.amdhsa_wavefront_size32 1
		.amdhsa_uses_dynamic_stack 0
		.amdhsa_enable_private_segment 0
		.amdhsa_system_sgpr_workgroup_id_x 1
		.amdhsa_system_sgpr_workgroup_id_y 1
		.amdhsa_system_sgpr_workgroup_id_z 0
		.amdhsa_system_sgpr_workgroup_info 0
		.amdhsa_system_vgpr_workitem_id 0
		.amdhsa_next_free_vgpr 20
		.amdhsa_next_free_sgpr 17
		.amdhsa_named_barrier_count 0
		.amdhsa_reserve_vcc 1
		.amdhsa_float_round_mode_32 0
		.amdhsa_float_round_mode_16_64 0
		.amdhsa_float_denorm_mode_32 3
		.amdhsa_float_denorm_mode_16_64 3
		.amdhsa_fp16_overflow 0
		.amdhsa_memory_ordered 1
		.amdhsa_forward_progress 1
		.amdhsa_inst_pref_size 19
		.amdhsa_round_robin_scheduling 0
		.amdhsa_exception_fp_ieee_invalid_op 0
		.amdhsa_exception_fp_denorm_src 0
		.amdhsa_exception_fp_ieee_div_zero 0
		.amdhsa_exception_fp_ieee_overflow 0
		.amdhsa_exception_fp_ieee_underflow 0
		.amdhsa_exception_fp_ieee_inexact 0
		.amdhsa_exception_int_div_zero 0
	.end_amdhsa_kernel
	.section	.text._ZN2at6native29vectorized_scatter_add_kernelILi16EN3c108BFloat16ElEEvPT0_PKS4_PKT1_illllii,"axG",@progbits,_ZN2at6native29vectorized_scatter_add_kernelILi16EN3c108BFloat16ElEEvPT0_PKS4_PKT1_illllii,comdat
.Lfunc_end8:
	.size	_ZN2at6native29vectorized_scatter_add_kernelILi16EN3c108BFloat16ElEEvPT0_PKS4_PKT1_illllii, .Lfunc_end8-_ZN2at6native29vectorized_scatter_add_kernelILi16EN3c108BFloat16ElEEvPT0_PKS4_PKT1_illllii
                                        ; -- End function
	.set _ZN2at6native29vectorized_scatter_add_kernelILi16EN3c108BFloat16ElEEvPT0_PKS4_PKT1_illllii.num_vgpr, 20
	.set _ZN2at6native29vectorized_scatter_add_kernelILi16EN3c108BFloat16ElEEvPT0_PKS4_PKT1_illllii.num_agpr, 0
	.set _ZN2at6native29vectorized_scatter_add_kernelILi16EN3c108BFloat16ElEEvPT0_PKS4_PKT1_illllii.numbered_sgpr, 17
	.set _ZN2at6native29vectorized_scatter_add_kernelILi16EN3c108BFloat16ElEEvPT0_PKS4_PKT1_illllii.num_named_barrier, 0
	.set _ZN2at6native29vectorized_scatter_add_kernelILi16EN3c108BFloat16ElEEvPT0_PKS4_PKT1_illllii.private_seg_size, 0
	.set _ZN2at6native29vectorized_scatter_add_kernelILi16EN3c108BFloat16ElEEvPT0_PKS4_PKT1_illllii.uses_vcc, 1
	.set _ZN2at6native29vectorized_scatter_add_kernelILi16EN3c108BFloat16ElEEvPT0_PKS4_PKT1_illllii.uses_flat_scratch, 0
	.set _ZN2at6native29vectorized_scatter_add_kernelILi16EN3c108BFloat16ElEEvPT0_PKS4_PKT1_illllii.has_dyn_sized_stack, 0
	.set _ZN2at6native29vectorized_scatter_add_kernelILi16EN3c108BFloat16ElEEvPT0_PKS4_PKT1_illllii.has_recursion, 0
	.set _ZN2at6native29vectorized_scatter_add_kernelILi16EN3c108BFloat16ElEEvPT0_PKS4_PKT1_illllii.has_indirect_call, 0
	.section	.AMDGPU.csdata,"",@progbits
; Kernel info:
; codeLenInByte = 2352
; TotalNumSgprs: 19
; NumVgprs: 20
; ScratchSize: 0
; MemoryBound: 0
; FloatMode: 240
; IeeeMode: 1
; LDSByteSize: 0 bytes/workgroup (compile time only)
; SGPRBlocks: 0
; VGPRBlocks: 1
; NumSGPRsForWavesPerEU: 19
; NumVGPRsForWavesPerEU: 20
; NamedBarCnt: 0
; Occupancy: 16
; WaveLimiterHint : 1
; COMPUTE_PGM_RSRC2:SCRATCH_EN: 0
; COMPUTE_PGM_RSRC2:USER_SGPR: 2
; COMPUTE_PGM_RSRC2:TRAP_HANDLER: 0
; COMPUTE_PGM_RSRC2:TGID_X_EN: 1
; COMPUTE_PGM_RSRC2:TGID_Y_EN: 1
; COMPUTE_PGM_RSRC2:TGID_Z_EN: 0
; COMPUTE_PGM_RSRC2:TIDIG_COMP_CNT: 0
	.section	.text._ZN2at6native29vectorized_scatter_add_kernelILi16EN3c108BFloat16EiEEvPT0_PKS4_PKT1_illllii,"axG",@progbits,_ZN2at6native29vectorized_scatter_add_kernelILi16EN3c108BFloat16EiEEvPT0_PKS4_PKT1_illllii,comdat
	.protected	_ZN2at6native29vectorized_scatter_add_kernelILi16EN3c108BFloat16EiEEvPT0_PKS4_PKT1_illllii ; -- Begin function _ZN2at6native29vectorized_scatter_add_kernelILi16EN3c108BFloat16EiEEvPT0_PKS4_PKT1_illllii
	.globl	_ZN2at6native29vectorized_scatter_add_kernelILi16EN3c108BFloat16EiEEvPT0_PKS4_PKT1_illllii
	.p2align	8
	.type	_ZN2at6native29vectorized_scatter_add_kernelILi16EN3c108BFloat16EiEEvPT0_PKS4_PKT1_illllii,@function
_ZN2at6native29vectorized_scatter_add_kernelILi16EN3c108BFloat16EiEEvPT0_PKS4_PKT1_illllii: ; @_ZN2at6native29vectorized_scatter_add_kernelILi16EN3c108BFloat16EiEEvPT0_PKS4_PKT1_illllii
; %bb.0:
	s_load_b64 s[2:3], s[0:1], 0x40
	s_bfe_u32 s6, ttmp6, 0x4000c
	s_getreg_b32 s12, hwreg(HW_REG_IB_STS2, 6, 4)
	s_add_co_i32 s6, s6, 1
	s_delay_alu instid0(SALU_CYCLE_1) | instskip(SKIP_3) | instid1(SALU_CYCLE_2)
	s_mul_i32 s6, ttmp9, s6
	s_wait_kmcnt 0x0
	s_cvt_f32_u32 s4, s2
	s_sub_co_i32 s5, 0, s2
	v_rcp_iflag_f32_e32 v1, s4
	v_nop
	s_delay_alu instid0(TRANS32_DEP_1) | instskip(SKIP_1) | instid1(SALU_CYCLE_3)
	v_readfirstlane_b32 s4, v1
	s_mul_f32 s4, s4, 0x4f7ffffe
	s_cvt_u32_f32 s4, s4
	s_delay_alu instid0(SALU_CYCLE_3) | instskip(NEXT) | instid1(SALU_CYCLE_1)
	s_mul_i32 s5, s5, s4
	s_mul_hi_u32 s5, s4, s5
	s_delay_alu instid0(SALU_CYCLE_1)
	s_add_co_i32 s4, s4, s5
	s_and_b32 s5, ttmp6, 15
	v_mul_hi_u32 v1, v0, s4
	s_load_b32 s4, s[0:1], 0x18
	s_add_co_i32 s5, s5, s6
	s_cmp_eq_u32 s12, 0
	s_cselect_b32 s5, ttmp9, s5
	s_delay_alu instid0(VALU_DEP_1) | instskip(NEXT) | instid1(VALU_DEP_1)
	v_mul_lo_u32 v2, v1, s2
	v_dual_add_nc_u32 v3, 1, v1 :: v_dual_sub_nc_u32 v2, v0, v2
	s_delay_alu instid0(VALU_DEP_1) | instskip(SKIP_1) | instid1(VALU_DEP_2)
	v_subrev_nc_u32_e32 v4, s2, v2
	v_cmp_le_u32_e32 vcc_lo, s2, v2
	v_dual_cndmask_b32 v1, v1, v3 :: v_dual_cndmask_b32 v2, v2, v4
	s_delay_alu instid0(VALU_DEP_1) | instskip(NEXT) | instid1(VALU_DEP_2)
	v_add_nc_u32_e32 v3, 1, v1
	v_cmp_le_u32_e32 vcc_lo, s2, v2
	s_delay_alu instid0(VALU_DEP_2) | instskip(NEXT) | instid1(VALU_DEP_1)
	v_cndmask_b32_e32 v4, v1, v3, vcc_lo
	v_mad_u32 v1, s3, s5, v4
	s_mov_b32 s3, exec_lo
	s_wait_kmcnt 0x0
	s_delay_alu instid0(VALU_DEP_1)
	v_cmpx_gt_i32_e64 s4, v1
	s_cbranch_execz .LBB9_24
; %bb.1:
	s_load_b64 s[4:5], s[0:1], 0x10
	s_mov_b32 s3, exec_lo
	s_wait_kmcnt 0x0
	global_load_b32 v2, v1, s[4:5] scale_offset
	s_wait_xcnt 0x0
	s_mov_b32 s4, -1
	s_wait_loadcnt 0x0
	v_cmpx_lt_i32_e32 -1, v2
	s_cbranch_execz .LBB9_23
; %bb.2:
	s_load_b256 s[4:11], s[0:1], 0x20
	v_ashrrev_i32_e32 v3, 31, v2
	s_get_pc_i64 s[14:15]
	s_add_nc_u64 s[14:15], s[14:15], .str.1@rel64+4
	s_delay_alu instid0(SALU_CYCLE_1) | instskip(SKIP_3) | instid1(SALU_CYCLE_1)
	s_cmp_eq_u64 s[14:15], 0
	s_wait_kmcnt 0x0
	v_cmp_le_i64_e32 vcc_lo, s[6:7], v[2:3]
	s_cselect_b32 s6, -1, 0
	s_or_b32 s6, vcc_lo, s6
	s_delay_alu instid0(SALU_CYCLE_1) | instskip(NEXT) | instid1(SALU_CYCLE_1)
	s_xor_b32 s11, s6, -1
	s_and_saveexec_b32 s7, s11
	s_cbranch_execz .LBB9_22
; %bb.3:
	s_bfe_u32 s11, ttmp6, 0x40010
	s_bfe_u32 s13, ttmp6, 0x40004
	s_add_co_i32 s11, s11, 1
	s_delay_alu instid0(SALU_CYCLE_1) | instskip(NEXT) | instid1(SALU_CYCLE_1)
	s_mul_i32 s11, ttmp7, s11
	s_add_co_i32 s13, s13, s11
	s_cmp_eq_u32 s12, 0
	s_cselect_b32 s11, ttmp7, s13
	s_delay_alu instid0(SALU_CYCLE_1) | instskip(SKIP_1) | instid1(VALU_DEP_1)
	v_sub_nc_u32_e32 v4, s11, v4
	s_mov_b32 s11, 0
	v_mul_lo_u32 v4, v4, s2
	s_delay_alu instid0(VALU_DEP_1) | instskip(NEXT) | instid1(VALU_DEP_1)
	v_add_lshl_u32 v4, v4, v0, 4
	v_ashrrev_i32_e32 v5, 31, v4
	s_delay_alu instid0(VALU_DEP_1)
	v_cmp_gt_i64_e32 vcc_lo, s[4:5], v[4:5]
	s_and_b32 exec_lo, exec_lo, vcc_lo
	s_cbranch_execz .LBB9_22
; %bb.4:
	s_clause 0x1
	s_load_b128 s[12:15], s[0:1], 0x0
	s_load_b32 s16, s[0:1], 0x4c
	v_mul_lo_u32 v0, v1, s10
	s_delay_alu instid0(VALU_DEP_1) | instskip(SKIP_2) | instid1(VALU_DEP_2)
	v_dual_mov_b32 v11, 0 :: v_dual_ashrrev_i32 v1, 31, v0
	s_wait_kmcnt 0x0
	v_mad_nc_u64_u32 v[6:7], s8, v2, s[12:13]
	v_add_nc_u64_e32 v[8:9], s[14:15], v[0:1]
	s_mul_i32 s0, s2, s16
	s_delay_alu instid0(SALU_CYCLE_1) | instskip(NEXT) | instid1(VALU_DEP_2)
	s_lshl_b32 s1, s0, 4
	v_mad_u32 v2, s9, v2, v7
	s_delay_alu instid0(VALU_DEP_1)
	v_mad_u32 v7, s8, v3, v2
.LBB9_5:                                ; =>This Loop Header: Depth=1
                                        ;     Child Loop BB9_6 Depth 2
                                        ;     Child Loop BB9_8 Depth 2
	;; [unrolled: 1-line block ×8, first 2 shown]
	s_delay_alu instid0(VALU_DEP_1) | instskip(NEXT) | instid1(VALU_DEP_4)
	v_add_nc_u64_e32 v[12:13], v[6:7], v[4:5]
	v_add_nc_u64_e32 v[18:19], v[8:9], v[4:5]
	s_mov_b32 s2, 0
	s_delay_alu instid0(VALU_DEP_2) | instskip(NEXT) | instid1(VALU_DEP_1)
	v_and_b32_e32 v10, 2, v12
	v_sub_nc_u64_e32 v[0:1], 0, v[10:11]
	v_cmp_eq_u64_e32 vcc_lo, 0, v[10:11]
	s_delay_alu instid0(VALU_DEP_2)
	v_add_nc_u64_e32 v[14:15], v[12:13], v[0:1]
	global_load_b128 v[0:3], v[18:19], off
	global_load_b32 v17, v[14:15], off
	s_wait_loadcnt 0x1
	v_lshlrev_b32_e32 v5, 16, v0
.LBB9_6:                                ;   Parent Loop BB9_5 Depth=1
                                        ; =>  This Inner Loop Header: Depth=2
	s_wait_loadcnt 0x0
	v_lshrrev_b32_e32 v10, 16, v17
	v_and_b32_e32 v16, 0xffff, v17
	s_delay_alu instid0(VALU_DEP_1) | instskip(NEXT) | instid1(VALU_DEP_1)
	v_cndmask_b32_e32 v10, v10, v16, vcc_lo
	v_lshlrev_b32_e32 v10, 16, v10
	s_delay_alu instid0(VALU_DEP_1) | instskip(NEXT) | instid1(VALU_DEP_1)
	v_add_f32_e32 v10, v5, v10
	v_bfe_u32 v18, v10, 16, 1
	v_cmp_o_f32_e64 s0, v10, v10
	s_delay_alu instid0(VALU_DEP_2) | instskip(NEXT) | instid1(VALU_DEP_1)
	v_add3_u32 v18, v10, v18, 0x7fff
	v_lshrrev_b32_e32 v18, 16, v18
	s_delay_alu instid0(VALU_DEP_1) | instskip(NEXT) | instid1(VALU_DEP_1)
	v_cndmask_b32_e64 v10, 0x7fc0, v18, s0
	v_lshl_or_b32 v16, v10, 16, v16
	v_and_or_b32 v10, 0xffff0000, v17, v10
	s_delay_alu instid0(VALU_DEP_1)
	v_cndmask_b32_e32 v16, v16, v10, vcc_lo
	global_atomic_cmpswap_b32 v10, v[14:15], v[16:17], off th:TH_ATOMIC_RETURN scope:SCOPE_DEV
	s_wait_loadcnt 0x0
	v_cmp_eq_u32_e64 s0, v17, v10
	v_mov_b32_e32 v17, v10
	s_or_b32 s2, s0, s2
	s_delay_alu instid0(SALU_CYCLE_1)
	s_and_not1_b32 exec_lo, exec_lo, s2
	s_cbranch_execnz .LBB9_6
; %bb.7:                                ;   in Loop: Header=BB9_5 Depth=1
	s_or_b32 exec_lo, exec_lo, s2
	v_add_nc_u32_e32 v5, 2, v12
	s_mov_b32 s2, 0
	s_delay_alu instid0(VALU_DEP_1) | instskip(SKIP_1) | instid1(VALU_DEP_2)
	v_and_b32_e32 v10, 2, v5
	v_and_b32_e32 v5, 0xffff0000, v0
	v_sub_nc_u64_e32 v[14:15], 0, v[10:11]
	v_cmp_eq_u32_e32 vcc_lo, 0, v10
	s_delay_alu instid0(VALU_DEP_2)
	v_add_nc_u64_e32 v[14:15], v[12:13], v[14:15]
	global_load_b32 v17, v[14:15], off offset:2
.LBB9_8:                                ;   Parent Loop BB9_5 Depth=1
                                        ; =>  This Inner Loop Header: Depth=2
	s_wait_loadcnt 0x0
	v_lshrrev_b32_e32 v10, 16, v17
	v_and_b32_e32 v16, 0xffff, v17
	s_delay_alu instid0(VALU_DEP_1) | instskip(NEXT) | instid1(VALU_DEP_1)
	v_cndmask_b32_e32 v10, v10, v16, vcc_lo
	v_lshlrev_b32_e32 v10, 16, v10
	s_delay_alu instid0(VALU_DEP_1) | instskip(NEXT) | instid1(VALU_DEP_1)
	v_add_f32_e32 v10, v5, v10
	v_bfe_u32 v18, v10, 16, 1
	v_cmp_o_f32_e64 s0, v10, v10
	s_delay_alu instid0(VALU_DEP_2) | instskip(NEXT) | instid1(VALU_DEP_1)
	v_add3_u32 v18, v10, v18, 0x7fff
	v_lshrrev_b32_e32 v18, 16, v18
	s_delay_alu instid0(VALU_DEP_1) | instskip(NEXT) | instid1(VALU_DEP_1)
	v_cndmask_b32_e64 v10, 0x7fc0, v18, s0
	v_lshl_or_b32 v16, v10, 16, v16
	v_and_or_b32 v10, 0xffff0000, v17, v10
	s_delay_alu instid0(VALU_DEP_1)
	v_cndmask_b32_e32 v16, v16, v10, vcc_lo
	global_atomic_cmpswap_b32 v10, v[14:15], v[16:17], off offset:2 th:TH_ATOMIC_RETURN scope:SCOPE_DEV
	s_wait_loadcnt 0x0
	v_cmp_eq_u32_e64 s0, v17, v10
	v_mov_b32_e32 v17, v10
	s_or_b32 s2, s0, s2
	s_delay_alu instid0(SALU_CYCLE_1)
	s_and_not1_b32 exec_lo, exec_lo, s2
	s_cbranch_execnz .LBB9_8
; %bb.9:                                ;   in Loop: Header=BB9_5 Depth=1
	s_or_b32 exec_lo, exec_lo, s2
	v_add_nc_u32_e32 v5, 4, v12
	v_alignbit_b32 v0, v1, v0, 16
	s_mov_b32 s2, 0
	s_delay_alu instid0(VALU_DEP_2) | instskip(NEXT) | instid1(VALU_DEP_2)
	v_and_b32_e32 v10, 2, v5
	v_and_b32_e32 v0, 0xffff0000, v0
	s_delay_alu instid0(VALU_DEP_2) | instskip(SKIP_1) | instid1(VALU_DEP_2)
	v_sub_nc_u64_e32 v[14:15], 0, v[10:11]
	v_cmp_eq_u32_e32 vcc_lo, 0, v10
	v_add_nc_u64_e32 v[14:15], v[12:13], v[14:15]
	global_load_b32 v17, v[14:15], off offset:4
.LBB9_10:                               ;   Parent Loop BB9_5 Depth=1
                                        ; =>  This Inner Loop Header: Depth=2
	s_wait_loadcnt 0x0
	v_lshrrev_b32_e32 v5, 16, v17
	v_and_b32_e32 v10, 0xffff, v17
	s_delay_alu instid0(VALU_DEP_1) | instskip(NEXT) | instid1(VALU_DEP_1)
	v_cndmask_b32_e32 v5, v5, v10, vcc_lo
	v_lshlrev_b32_e32 v5, 16, v5
	s_delay_alu instid0(VALU_DEP_1) | instskip(NEXT) | instid1(VALU_DEP_1)
	v_add_f32_e32 v5, v0, v5
	v_bfe_u32 v16, v5, 16, 1
	v_cmp_o_f32_e64 s0, v5, v5
	s_delay_alu instid0(VALU_DEP_2) | instskip(NEXT) | instid1(VALU_DEP_1)
	v_add3_u32 v16, v5, v16, 0x7fff
	v_lshrrev_b32_e32 v16, 16, v16
	s_delay_alu instid0(VALU_DEP_1) | instskip(NEXT) | instid1(VALU_DEP_1)
	v_cndmask_b32_e64 v5, 0x7fc0, v16, s0
	v_lshl_or_b32 v10, v5, 16, v10
	v_and_or_b32 v5, 0xffff0000, v17, v5
	s_delay_alu instid0(VALU_DEP_1)
	v_cndmask_b32_e32 v16, v10, v5, vcc_lo
	global_atomic_cmpswap_b32 v5, v[14:15], v[16:17], off offset:4 th:TH_ATOMIC_RETURN scope:SCOPE_DEV
	s_wait_loadcnt 0x0
	v_cmp_eq_u32_e64 s0, v17, v5
	v_mov_b32_e32 v17, v5
	s_or_b32 s2, s0, s2
	s_delay_alu instid0(SALU_CYCLE_1)
	s_and_not1_b32 exec_lo, exec_lo, s2
	s_cbranch_execnz .LBB9_10
; %bb.11:                               ;   in Loop: Header=BB9_5 Depth=1
	s_or_b32 exec_lo, exec_lo, s2
	v_add_nc_u32_e32 v0, 6, v12
	s_mov_b32 s2, 0
	s_delay_alu instid0(VALU_DEP_1) | instskip(SKIP_1) | instid1(VALU_DEP_2)
	v_and_b32_e32 v10, 2, v0
	v_and_b32_e32 v0, 0xffff0000, v1
	v_sub_nc_u64_e32 v[14:15], 0, v[10:11]
	v_cmp_eq_u32_e32 vcc_lo, 0, v10
	s_delay_alu instid0(VALU_DEP_2)
	v_add_nc_u64_e32 v[14:15], v[12:13], v[14:15]
	global_load_b32 v17, v[14:15], off offset:6
.LBB9_12:                               ;   Parent Loop BB9_5 Depth=1
                                        ; =>  This Inner Loop Header: Depth=2
	s_wait_loadcnt 0x0
	v_lshrrev_b32_e32 v1, 16, v17
	v_and_b32_e32 v5, 0xffff, v17
	s_delay_alu instid0(VALU_DEP_1) | instskip(NEXT) | instid1(VALU_DEP_1)
	v_cndmask_b32_e32 v1, v1, v5, vcc_lo
	v_lshlrev_b32_e32 v1, 16, v1
	s_delay_alu instid0(VALU_DEP_1) | instskip(NEXT) | instid1(VALU_DEP_1)
	v_add_f32_e32 v1, v0, v1
	v_bfe_u32 v10, v1, 16, 1
	v_cmp_o_f32_e64 s0, v1, v1
	s_delay_alu instid0(VALU_DEP_2) | instskip(NEXT) | instid1(VALU_DEP_1)
	v_add3_u32 v10, v1, v10, 0x7fff
	v_lshrrev_b32_e32 v10, 16, v10
	s_delay_alu instid0(VALU_DEP_1) | instskip(NEXT) | instid1(VALU_DEP_1)
	v_cndmask_b32_e64 v1, 0x7fc0, v10, s0
	v_lshl_or_b32 v5, v1, 16, v5
	v_and_or_b32 v1, 0xffff0000, v17, v1
	s_delay_alu instid0(VALU_DEP_1)
	v_cndmask_b32_e32 v16, v5, v1, vcc_lo
	global_atomic_cmpswap_b32 v1, v[14:15], v[16:17], off offset:6 th:TH_ATOMIC_RETURN scope:SCOPE_DEV
	s_wait_loadcnt 0x0
	v_cmp_eq_u32_e64 s0, v17, v1
	v_mov_b32_e32 v17, v1
	s_or_b32 s2, s0, s2
	s_delay_alu instid0(SALU_CYCLE_1)
	s_and_not1_b32 exec_lo, exec_lo, s2
	s_cbranch_execnz .LBB9_12
; %bb.13:                               ;   in Loop: Header=BB9_5 Depth=1
	s_or_b32 exec_lo, exec_lo, s2
	v_dual_add_nc_u32 v0, 8, v12 :: v_dual_lshlrev_b32 v5, 16, v2
	s_mov_b32 s2, 0
	s_delay_alu instid0(VALU_DEP_1) | instskip(NEXT) | instid1(VALU_DEP_1)
	v_and_b32_e32 v10, 2, v0
	v_sub_nc_u64_e32 v[0:1], 0, v[10:11]
	v_cmp_eq_u32_e32 vcc_lo, 0, v10
	s_delay_alu instid0(VALU_DEP_2)
	v_add_nc_u64_e32 v[0:1], v[12:13], v[0:1]
	global_load_b32 v15, v[0:1], off offset:8
.LBB9_14:                               ;   Parent Loop BB9_5 Depth=1
                                        ; =>  This Inner Loop Header: Depth=2
	s_wait_loadcnt 0x0
	v_lshrrev_b32_e32 v10, 16, v15
	v_and_b32_e32 v14, 0xffff, v15
	s_delay_alu instid0(VALU_DEP_1) | instskip(NEXT) | instid1(VALU_DEP_1)
	v_cndmask_b32_e32 v10, v10, v14, vcc_lo
	v_lshlrev_b32_e32 v10, 16, v10
	s_delay_alu instid0(VALU_DEP_1) | instskip(NEXT) | instid1(VALU_DEP_1)
	v_add_f32_e32 v10, v5, v10
	v_bfe_u32 v16, v10, 16, 1
	v_cmp_o_f32_e64 s0, v10, v10
	s_delay_alu instid0(VALU_DEP_2) | instskip(NEXT) | instid1(VALU_DEP_1)
	v_add3_u32 v16, v10, v16, 0x7fff
	v_lshrrev_b32_e32 v16, 16, v16
	s_delay_alu instid0(VALU_DEP_1) | instskip(NEXT) | instid1(VALU_DEP_1)
	v_cndmask_b32_e64 v10, 0x7fc0, v16, s0
	v_lshl_or_b32 v14, v10, 16, v14
	v_and_or_b32 v10, 0xffff0000, v15, v10
	s_delay_alu instid0(VALU_DEP_1)
	v_cndmask_b32_e32 v14, v14, v10, vcc_lo
	global_atomic_cmpswap_b32 v10, v[0:1], v[14:15], off offset:8 th:TH_ATOMIC_RETURN scope:SCOPE_DEV
	s_wait_loadcnt 0x0
	v_cmp_eq_u32_e64 s0, v15, v10
	v_mov_b32_e32 v15, v10
	s_or_b32 s2, s0, s2
	s_delay_alu instid0(SALU_CYCLE_1)
	s_and_not1_b32 exec_lo, exec_lo, s2
	s_cbranch_execnz .LBB9_14
; %bb.15:                               ;   in Loop: Header=BB9_5 Depth=1
	s_or_b32 exec_lo, exec_lo, s2
	v_add_nc_u32_e32 v0, 10, v12
	v_and_b32_e32 v5, 0xffff0000, v2
	s_mov_b32 s2, 0
	s_delay_alu instid0(VALU_DEP_2) | instskip(NEXT) | instid1(VALU_DEP_1)
	v_and_b32_e32 v10, 2, v0
	v_sub_nc_u64_e32 v[0:1], 0, v[10:11]
	v_cmp_eq_u32_e32 vcc_lo, 0, v10
	s_delay_alu instid0(VALU_DEP_2)
	v_add_nc_u64_e32 v[0:1], v[12:13], v[0:1]
	global_load_b32 v15, v[0:1], off offset:10
.LBB9_16:                               ;   Parent Loop BB9_5 Depth=1
                                        ; =>  This Inner Loop Header: Depth=2
	s_wait_loadcnt 0x0
	v_lshrrev_b32_e32 v10, 16, v15
	v_and_b32_e32 v14, 0xffff, v15
	s_delay_alu instid0(VALU_DEP_1) | instskip(NEXT) | instid1(VALU_DEP_1)
	v_cndmask_b32_e32 v10, v10, v14, vcc_lo
	v_lshlrev_b32_e32 v10, 16, v10
	s_delay_alu instid0(VALU_DEP_1) | instskip(NEXT) | instid1(VALU_DEP_1)
	v_add_f32_e32 v10, v5, v10
	v_bfe_u32 v16, v10, 16, 1
	v_cmp_o_f32_e64 s0, v10, v10
	s_delay_alu instid0(VALU_DEP_2) | instskip(NEXT) | instid1(VALU_DEP_1)
	v_add3_u32 v16, v10, v16, 0x7fff
	v_lshrrev_b32_e32 v16, 16, v16
	s_delay_alu instid0(VALU_DEP_1) | instskip(NEXT) | instid1(VALU_DEP_1)
	v_cndmask_b32_e64 v10, 0x7fc0, v16, s0
	v_lshl_or_b32 v14, v10, 16, v14
	v_and_or_b32 v10, 0xffff0000, v15, v10
	s_delay_alu instid0(VALU_DEP_1)
	v_cndmask_b32_e32 v14, v14, v10, vcc_lo
	global_atomic_cmpswap_b32 v10, v[0:1], v[14:15], off offset:10 th:TH_ATOMIC_RETURN scope:SCOPE_DEV
	s_wait_loadcnt 0x0
	v_cmp_eq_u32_e64 s0, v15, v10
	v_mov_b32_e32 v15, v10
	s_or_b32 s2, s0, s2
	s_delay_alu instid0(SALU_CYCLE_1)
	s_and_not1_b32 exec_lo, exec_lo, s2
	s_cbranch_execnz .LBB9_16
; %bb.17:                               ;   in Loop: Header=BB9_5 Depth=1
	s_or_b32 exec_lo, exec_lo, s2
	v_add_nc_u32_e32 v0, 12, v12
	v_alignbit_b32 v2, v3, v2, 16
	s_mov_b32 s2, 0
	s_delay_alu instid0(VALU_DEP_2) | instskip(NEXT) | instid1(VALU_DEP_2)
	v_and_b32_e32 v10, 2, v0
	v_and_b32_e32 v2, 0xffff0000, v2
	s_delay_alu instid0(VALU_DEP_2) | instskip(SKIP_1) | instid1(VALU_DEP_2)
	v_sub_nc_u64_e32 v[0:1], 0, v[10:11]
	v_cmp_eq_u32_e32 vcc_lo, 0, v10
	v_add_nc_u64_e32 v[0:1], v[12:13], v[0:1]
	global_load_b32 v15, v[0:1], off offset:12
.LBB9_18:                               ;   Parent Loop BB9_5 Depth=1
                                        ; =>  This Inner Loop Header: Depth=2
	s_wait_loadcnt 0x0
	v_lshrrev_b32_e32 v5, 16, v15
	v_and_b32_e32 v10, 0xffff, v15
	s_delay_alu instid0(VALU_DEP_1) | instskip(NEXT) | instid1(VALU_DEP_1)
	v_cndmask_b32_e32 v5, v5, v10, vcc_lo
	v_lshlrev_b32_e32 v5, 16, v5
	s_delay_alu instid0(VALU_DEP_1) | instskip(NEXT) | instid1(VALU_DEP_1)
	v_add_f32_e32 v5, v2, v5
	v_bfe_u32 v14, v5, 16, 1
	v_cmp_o_f32_e64 s0, v5, v5
	s_delay_alu instid0(VALU_DEP_2) | instskip(NEXT) | instid1(VALU_DEP_1)
	v_add3_u32 v14, v5, v14, 0x7fff
	v_lshrrev_b32_e32 v14, 16, v14
	s_delay_alu instid0(VALU_DEP_1) | instskip(NEXT) | instid1(VALU_DEP_1)
	v_cndmask_b32_e64 v5, 0x7fc0, v14, s0
	v_lshl_or_b32 v10, v5, 16, v10
	v_and_or_b32 v5, 0xffff0000, v15, v5
	s_delay_alu instid0(VALU_DEP_1)
	v_cndmask_b32_e32 v14, v10, v5, vcc_lo
	global_atomic_cmpswap_b32 v5, v[0:1], v[14:15], off offset:12 th:TH_ATOMIC_RETURN scope:SCOPE_DEV
	s_wait_loadcnt 0x0
	v_cmp_eq_u32_e64 s0, v15, v5
	v_mov_b32_e32 v15, v5
	s_or_b32 s2, s0, s2
	s_delay_alu instid0(SALU_CYCLE_1)
	s_and_not1_b32 exec_lo, exec_lo, s2
	s_cbranch_execnz .LBB9_18
; %bb.19:                               ;   in Loop: Header=BB9_5 Depth=1
	s_or_b32 exec_lo, exec_lo, s2
	v_add_nc_u32_e32 v0, 14, v12
	v_and_b32_e32 v2, 0xffff0000, v3
	s_mov_b32 s2, 0
	s_delay_alu instid0(VALU_DEP_2) | instskip(NEXT) | instid1(VALU_DEP_1)
	v_and_b32_e32 v10, 2, v0
	v_sub_nc_u64_e32 v[0:1], 0, v[10:11]
	v_cmp_eq_u32_e32 vcc_lo, 0, v10
	s_delay_alu instid0(VALU_DEP_2)
	v_add_nc_u64_e32 v[0:1], v[12:13], v[0:1]
	global_load_b32 v13, v[0:1], off offset:14
.LBB9_20:                               ;   Parent Loop BB9_5 Depth=1
                                        ; =>  This Inner Loop Header: Depth=2
	s_wait_loadcnt 0x0
	v_lshrrev_b32_e32 v3, 16, v13
	v_and_b32_e32 v5, 0xffff, v13
	s_delay_alu instid0(VALU_DEP_1) | instskip(NEXT) | instid1(VALU_DEP_1)
	v_cndmask_b32_e32 v3, v3, v5, vcc_lo
	v_lshlrev_b32_e32 v3, 16, v3
	s_delay_alu instid0(VALU_DEP_1) | instskip(NEXT) | instid1(VALU_DEP_1)
	v_add_f32_e32 v3, v2, v3
	v_bfe_u32 v10, v3, 16, 1
	v_cmp_o_f32_e64 s0, v3, v3
	s_delay_alu instid0(VALU_DEP_2) | instskip(NEXT) | instid1(VALU_DEP_1)
	v_add3_u32 v10, v3, v10, 0x7fff
	v_lshrrev_b32_e32 v10, 16, v10
	s_delay_alu instid0(VALU_DEP_1) | instskip(NEXT) | instid1(VALU_DEP_1)
	v_cndmask_b32_e64 v3, 0x7fc0, v10, s0
	v_lshl_or_b32 v5, v3, 16, v5
	v_and_or_b32 v3, 0xffff0000, v13, v3
	s_delay_alu instid0(VALU_DEP_1)
	v_cndmask_b32_e32 v12, v5, v3, vcc_lo
	global_atomic_cmpswap_b32 v3, v[0:1], v[12:13], off offset:14 th:TH_ATOMIC_RETURN scope:SCOPE_DEV
	s_wait_loadcnt 0x0
	v_cmp_eq_u32_e64 s0, v13, v3
	v_mov_b32_e32 v13, v3
	s_or_b32 s2, s0, s2
	s_delay_alu instid0(SALU_CYCLE_1)
	s_and_not1_b32 exec_lo, exec_lo, s2
	s_cbranch_execnz .LBB9_20
; %bb.21:                               ;   in Loop: Header=BB9_5 Depth=1
	s_or_b32 exec_lo, exec_lo, s2
	v_add_nc_u32_e32 v4, s1, v4
	s_delay_alu instid0(VALU_DEP_1) | instskip(NEXT) | instid1(VALU_DEP_1)
	v_ashrrev_i32_e32 v5, 31, v4
	v_cmp_le_i64_e32 vcc_lo, s[4:5], v[4:5]
	s_or_b32 s11, vcc_lo, s11
	s_delay_alu instid0(SALU_CYCLE_1)
	s_and_not1_b32 exec_lo, exec_lo, s11
	s_cbranch_execnz .LBB9_5
.LBB9_22:
	s_or_b32 exec_lo, exec_lo, s7
	s_delay_alu instid0(SALU_CYCLE_1)
	s_or_not1_b32 s4, s6, exec_lo
.LBB9_23:
	s_or_b32 exec_lo, exec_lo, s3
	s_delay_alu instid0(SALU_CYCLE_1)
	s_and_b32 exec_lo, exec_lo, s4
	s_cbranch_execnz .LBB9_25
.LBB9_24:
	s_endpgm
.LBB9_25:
	s_trap 2
	; divergent unreachable
	s_endpgm
	.section	.rodata,"a",@progbits
	.p2align	6, 0x0
	.amdhsa_kernel _ZN2at6native29vectorized_scatter_add_kernelILi16EN3c108BFloat16EiEEvPT0_PKS4_PKT1_illllii
		.amdhsa_group_segment_fixed_size 0
		.amdhsa_private_segment_fixed_size 0
		.amdhsa_kernarg_size 328
		.amdhsa_user_sgpr_count 2
		.amdhsa_user_sgpr_dispatch_ptr 0
		.amdhsa_user_sgpr_queue_ptr 0
		.amdhsa_user_sgpr_kernarg_segment_ptr 1
		.amdhsa_user_sgpr_dispatch_id 0
		.amdhsa_user_sgpr_kernarg_preload_length 0
		.amdhsa_user_sgpr_kernarg_preload_offset 0
		.amdhsa_user_sgpr_private_segment_size 0
		.amdhsa_wavefront_size32 1
		.amdhsa_uses_dynamic_stack 0
		.amdhsa_enable_private_segment 0
		.amdhsa_system_sgpr_workgroup_id_x 1
		.amdhsa_system_sgpr_workgroup_id_y 1
		.amdhsa_system_sgpr_workgroup_id_z 0
		.amdhsa_system_sgpr_workgroup_info 0
		.amdhsa_system_vgpr_workitem_id 0
		.amdhsa_next_free_vgpr 20
		.amdhsa_next_free_sgpr 17
		.amdhsa_named_barrier_count 0
		.amdhsa_reserve_vcc 1
		.amdhsa_float_round_mode_32 0
		.amdhsa_float_round_mode_16_64 0
		.amdhsa_float_denorm_mode_32 3
		.amdhsa_float_denorm_mode_16_64 3
		.amdhsa_fp16_overflow 0
		.amdhsa_memory_ordered 1
		.amdhsa_forward_progress 1
		.amdhsa_inst_pref_size 19
		.amdhsa_round_robin_scheduling 0
		.amdhsa_exception_fp_ieee_invalid_op 0
		.amdhsa_exception_fp_denorm_src 0
		.amdhsa_exception_fp_ieee_div_zero 0
		.amdhsa_exception_fp_ieee_overflow 0
		.amdhsa_exception_fp_ieee_underflow 0
		.amdhsa_exception_fp_ieee_inexact 0
		.amdhsa_exception_int_div_zero 0
	.end_amdhsa_kernel
	.section	.text._ZN2at6native29vectorized_scatter_add_kernelILi16EN3c108BFloat16EiEEvPT0_PKS4_PKT1_illllii,"axG",@progbits,_ZN2at6native29vectorized_scatter_add_kernelILi16EN3c108BFloat16EiEEvPT0_PKS4_PKT1_illllii,comdat
.Lfunc_end9:
	.size	_ZN2at6native29vectorized_scatter_add_kernelILi16EN3c108BFloat16EiEEvPT0_PKS4_PKT1_illllii, .Lfunc_end9-_ZN2at6native29vectorized_scatter_add_kernelILi16EN3c108BFloat16EiEEvPT0_PKS4_PKT1_illllii
                                        ; -- End function
	.set _ZN2at6native29vectorized_scatter_add_kernelILi16EN3c108BFloat16EiEEvPT0_PKS4_PKT1_illllii.num_vgpr, 20
	.set _ZN2at6native29vectorized_scatter_add_kernelILi16EN3c108BFloat16EiEEvPT0_PKS4_PKT1_illllii.num_agpr, 0
	.set _ZN2at6native29vectorized_scatter_add_kernelILi16EN3c108BFloat16EiEEvPT0_PKS4_PKT1_illllii.numbered_sgpr, 17
	.set _ZN2at6native29vectorized_scatter_add_kernelILi16EN3c108BFloat16EiEEvPT0_PKS4_PKT1_illllii.num_named_barrier, 0
	.set _ZN2at6native29vectorized_scatter_add_kernelILi16EN3c108BFloat16EiEEvPT0_PKS4_PKT1_illllii.private_seg_size, 0
	.set _ZN2at6native29vectorized_scatter_add_kernelILi16EN3c108BFloat16EiEEvPT0_PKS4_PKT1_illllii.uses_vcc, 1
	.set _ZN2at6native29vectorized_scatter_add_kernelILi16EN3c108BFloat16EiEEvPT0_PKS4_PKT1_illllii.uses_flat_scratch, 0
	.set _ZN2at6native29vectorized_scatter_add_kernelILi16EN3c108BFloat16EiEEvPT0_PKS4_PKT1_illllii.has_dyn_sized_stack, 0
	.set _ZN2at6native29vectorized_scatter_add_kernelILi16EN3c108BFloat16EiEEvPT0_PKS4_PKT1_illllii.has_recursion, 0
	.set _ZN2at6native29vectorized_scatter_add_kernelILi16EN3c108BFloat16EiEEvPT0_PKS4_PKT1_illllii.has_indirect_call, 0
	.section	.AMDGPU.csdata,"",@progbits
; Kernel info:
; codeLenInByte = 2356
; TotalNumSgprs: 19
; NumVgprs: 20
; ScratchSize: 0
; MemoryBound: 0
; FloatMode: 240
; IeeeMode: 1
; LDSByteSize: 0 bytes/workgroup (compile time only)
; SGPRBlocks: 0
; VGPRBlocks: 1
; NumSGPRsForWavesPerEU: 19
; NumVGPRsForWavesPerEU: 20
; NamedBarCnt: 0
; Occupancy: 16
; WaveLimiterHint : 1
; COMPUTE_PGM_RSRC2:SCRATCH_EN: 0
; COMPUTE_PGM_RSRC2:USER_SGPR: 2
; COMPUTE_PGM_RSRC2:TRAP_HANDLER: 0
; COMPUTE_PGM_RSRC2:TGID_X_EN: 1
; COMPUTE_PGM_RSRC2:TGID_Y_EN: 1
; COMPUTE_PGM_RSRC2:TGID_Z_EN: 0
; COMPUTE_PGM_RSRC2:TIDIG_COMP_CNT: 0
	.section	.AMDGPU.gpr_maximums,"",@progbits
	.set amdgpu.max_num_vgpr, 0
	.set amdgpu.max_num_agpr, 0
	.set amdgpu.max_num_sgpr, 0
	.section	.AMDGPU.csdata,"",@progbits
	.type	.str,@object                    ; @.str
	.section	.rodata.str1.1,"aMS",@progbits,1
.str:
	.asciz	"vectorized gather kernel index out of bounds"
	.size	.str, 45

	.type	.str.1,@object                  ; @.str.1
.str.1:
	.asciz	"vectorized scatter add kernel index out of bounds"
	.size	.str.1, 50

	.type	__hip_cuid_c094c41458c6496c,@object ; @__hip_cuid_c094c41458c6496c
	.section	.bss,"aw",@nobits
	.globl	__hip_cuid_c094c41458c6496c
__hip_cuid_c094c41458c6496c:
	.byte	0                               ; 0x0
	.size	__hip_cuid_c094c41458c6496c, 1

	.ident	"AMD clang version 22.0.0git (https://github.com/RadeonOpenCompute/llvm-project roc-7.2.4 26084 f58b06dce1f9c15707c5f808fd002e18c2accf7e)"
	.section	".note.GNU-stack","",@progbits
	.addrsig
	.addrsig_sym __hip_cuid_c094c41458c6496c
	.amdgpu_metadata
---
amdhsa.kernels:
  - .args:
      - .address_space:  global
        .offset:         0
        .size:           8
        .value_kind:     global_buffer
      - .address_space:  global
        .offset:         8
        .size:           8
        .value_kind:     global_buffer
      - .address_space:  global
        .offset:         16
        .size:           8
        .value_kind:     global_buffer
      - .offset:         24
        .size:           4
        .value_kind:     by_value
      - .offset:         32
        .size:           8
        .value_kind:     by_value
      - .offset:         40
        .size:           8
        .value_kind:     by_value
      - .offset:         48
        .size:           8
        .value_kind:     by_value
      - .offset:         56
        .size:           8
        .value_kind:     by_value
      - .offset:         64
        .size:           1
        .value_kind:     by_value
      - .offset:         72
        .size:           4
        .value_kind:     hidden_block_count_x
      - .offset:         76
        .size:           4
        .value_kind:     hidden_block_count_y
      - .offset:         80
        .size:           4
        .value_kind:     hidden_block_count_z
      - .offset:         84
        .size:           2
        .value_kind:     hidden_group_size_x
      - .offset:         86
        .size:           2
        .value_kind:     hidden_group_size_y
      - .offset:         88
        .size:           2
        .value_kind:     hidden_group_size_z
      - .offset:         90
        .size:           2
        .value_kind:     hidden_remainder_x
      - .offset:         92
        .size:           2
        .value_kind:     hidden_remainder_y
      - .offset:         94
        .size:           2
        .value_kind:     hidden_remainder_z
      - .offset:         112
        .size:           8
        .value_kind:     hidden_global_offset_x
      - .offset:         120
        .size:           8
        .value_kind:     hidden_global_offset_y
      - .offset:         128
        .size:           8
        .value_kind:     hidden_global_offset_z
      - .offset:         136
        .size:           2
        .value_kind:     hidden_grid_dims
    .group_segment_fixed_size: 0
    .kernarg_segment_align: 8
    .kernarg_segment_size: 328
    .language:       OpenCL C
    .language_version:
      - 2
      - 0
    .max_flat_workgroup_size: 1024
    .name:           _ZN2at6native24vectorized_gather_kernelILi16ElEEvPcS2_PT0_illllb
    .private_segment_fixed_size: 0
    .sgpr_count:     23
    .sgpr_spill_count: 0
    .symbol:         _ZN2at6native24vectorized_gather_kernelILi16ElEEvPcS2_PT0_illllb.kd
    .uniform_work_group_size: 1
    .uses_dynamic_stack: false
    .vgpr_count:     10
    .vgpr_spill_count: 0
    .wavefront_size: 32
  - .args:
      - .address_space:  global
        .offset:         0
        .size:           8
        .value_kind:     global_buffer
      - .address_space:  global
        .offset:         8
        .size:           8
        .value_kind:     global_buffer
      - .address_space:  global
        .offset:         16
        .size:           8
        .value_kind:     global_buffer
      - .offset:         24
        .size:           4
        .value_kind:     by_value
      - .offset:         32
        .size:           8
        .value_kind:     by_value
      - .offset:         40
        .size:           8
        .value_kind:     by_value
      - .offset:         48
        .size:           8
        .value_kind:     by_value
      - .offset:         56
        .size:           8
        .value_kind:     by_value
      - .offset:         64
        .size:           1
        .value_kind:     by_value
      - .offset:         72
        .size:           4
        .value_kind:     hidden_block_count_x
      - .offset:         76
        .size:           4
        .value_kind:     hidden_block_count_y
      - .offset:         80
        .size:           4
        .value_kind:     hidden_block_count_z
      - .offset:         84
        .size:           2
        .value_kind:     hidden_group_size_x
      - .offset:         86
        .size:           2
        .value_kind:     hidden_group_size_y
      - .offset:         88
        .size:           2
        .value_kind:     hidden_group_size_z
      - .offset:         90
        .size:           2
        .value_kind:     hidden_remainder_x
      - .offset:         92
        .size:           2
        .value_kind:     hidden_remainder_y
      - .offset:         94
        .size:           2
        .value_kind:     hidden_remainder_z
      - .offset:         112
        .size:           8
        .value_kind:     hidden_global_offset_x
      - .offset:         120
        .size:           8
        .value_kind:     hidden_global_offset_y
      - .offset:         128
        .size:           8
        .value_kind:     hidden_global_offset_z
      - .offset:         136
        .size:           2
        .value_kind:     hidden_grid_dims
    .group_segment_fixed_size: 0
    .kernarg_segment_align: 8
    .kernarg_segment_size: 328
    .language:       OpenCL C
    .language_version:
      - 2
      - 0
    .max_flat_workgroup_size: 1024
    .name:           _ZN2at6native24vectorized_gather_kernelILi16EiEEvPcS2_PT0_illllb
    .private_segment_fixed_size: 0
    .sgpr_count:     23
    .sgpr_spill_count: 0
    .symbol:         _ZN2at6native24vectorized_gather_kernelILi16EiEEvPcS2_PT0_illllb.kd
    .uniform_work_group_size: 1
    .uses_dynamic_stack: false
    .vgpr_count:     10
    .vgpr_spill_count: 0
    .wavefront_size: 32
  - .args:
      - .address_space:  global
        .offset:         0
        .size:           8
        .value_kind:     global_buffer
      - .actual_access:  read_only
        .address_space:  global
        .offset:         8
        .size:           8
        .value_kind:     global_buffer
      - .actual_access:  read_only
        .address_space:  global
        .offset:         16
        .size:           8
        .value_kind:     global_buffer
      - .offset:         24
        .size:           4
        .value_kind:     by_value
      - .offset:         32
        .size:           8
        .value_kind:     by_value
      - .offset:         40
        .size:           8
        .value_kind:     by_value
      - .offset:         48
        .size:           8
        .value_kind:     by_value
      - .offset:         56
        .size:           8
        .value_kind:     by_value
      - .offset:         64
        .size:           4
        .value_kind:     by_value
      - .offset:         68
        .size:           4
        .value_kind:     by_value
      - .offset:         72
        .size:           4
        .value_kind:     hidden_block_count_x
      - .offset:         76
        .size:           4
        .value_kind:     hidden_block_count_y
      - .offset:         80
        .size:           4
        .value_kind:     hidden_block_count_z
      - .offset:         84
        .size:           2
        .value_kind:     hidden_group_size_x
      - .offset:         86
        .size:           2
        .value_kind:     hidden_group_size_y
      - .offset:         88
        .size:           2
        .value_kind:     hidden_group_size_z
      - .offset:         90
        .size:           2
        .value_kind:     hidden_remainder_x
      - .offset:         92
        .size:           2
        .value_kind:     hidden_remainder_y
      - .offset:         94
        .size:           2
        .value_kind:     hidden_remainder_z
      - .offset:         112
        .size:           8
        .value_kind:     hidden_global_offset_x
      - .offset:         120
        .size:           8
        .value_kind:     hidden_global_offset_y
      - .offset:         128
        .size:           8
        .value_kind:     hidden_global_offset_z
      - .offset:         136
        .size:           2
        .value_kind:     hidden_grid_dims
    .group_segment_fixed_size: 0
    .kernarg_segment_align: 8
    .kernarg_segment_size: 328
    .language:       OpenCL C
    .language_version:
      - 2
      - 0
    .max_flat_workgroup_size: 1024
    .name:           _ZN2at6native29vectorized_scatter_add_kernelILi16EflEEvPT0_PKS2_PKT1_illllii
    .private_segment_fixed_size: 0
    .sgpr_count:     22
    .sgpr_spill_count: 0
    .symbol:         _ZN2at6native29vectorized_scatter_add_kernelILi16EflEEvPT0_PKS2_PKT1_illllii.kd
    .uniform_work_group_size: 1
    .uses_dynamic_stack: false
    .vgpr_count:     12
    .vgpr_spill_count: 0
    .wavefront_size: 32
  - .args:
      - .address_space:  global
        .offset:         0
        .size:           8
        .value_kind:     global_buffer
      - .actual_access:  read_only
        .address_space:  global
        .offset:         8
        .size:           8
        .value_kind:     global_buffer
      - .actual_access:  read_only
        .address_space:  global
        .offset:         16
        .size:           8
        .value_kind:     global_buffer
      - .offset:         24
        .size:           4
        .value_kind:     by_value
      - .offset:         32
        .size:           8
        .value_kind:     by_value
      - .offset:         40
        .size:           8
        .value_kind:     by_value
      - .offset:         48
        .size:           8
        .value_kind:     by_value
      - .offset:         56
        .size:           8
        .value_kind:     by_value
      - .offset:         64
        .size:           4
        .value_kind:     by_value
      - .offset:         68
        .size:           4
        .value_kind:     by_value
      - .offset:         72
        .size:           4
        .value_kind:     hidden_block_count_x
      - .offset:         76
        .size:           4
        .value_kind:     hidden_block_count_y
      - .offset:         80
        .size:           4
        .value_kind:     hidden_block_count_z
      - .offset:         84
        .size:           2
        .value_kind:     hidden_group_size_x
      - .offset:         86
        .size:           2
        .value_kind:     hidden_group_size_y
      - .offset:         88
        .size:           2
        .value_kind:     hidden_group_size_z
      - .offset:         90
        .size:           2
        .value_kind:     hidden_remainder_x
      - .offset:         92
        .size:           2
        .value_kind:     hidden_remainder_y
      - .offset:         94
        .size:           2
        .value_kind:     hidden_remainder_z
      - .offset:         112
        .size:           8
        .value_kind:     hidden_global_offset_x
      - .offset:         120
        .size:           8
        .value_kind:     hidden_global_offset_y
      - .offset:         128
        .size:           8
        .value_kind:     hidden_global_offset_z
      - .offset:         136
        .size:           2
        .value_kind:     hidden_grid_dims
    .group_segment_fixed_size: 0
    .kernarg_segment_align: 8
    .kernarg_segment_size: 328
    .language:       OpenCL C
    .language_version:
      - 2
      - 0
    .max_flat_workgroup_size: 1024
    .name:           _ZN2at6native29vectorized_scatter_add_kernelILi16EfiEEvPT0_PKS2_PKT1_illllii
    .private_segment_fixed_size: 0
    .sgpr_count:     22
    .sgpr_spill_count: 0
    .symbol:         _ZN2at6native29vectorized_scatter_add_kernelILi16EfiEEvPT0_PKS2_PKT1_illllii.kd
    .uniform_work_group_size: 1
    .uses_dynamic_stack: false
    .vgpr_count:     12
    .vgpr_spill_count: 0
    .wavefront_size: 32
  - .args:
      - .address_space:  global
        .offset:         0
        .size:           8
        .value_kind:     global_buffer
      - .actual_access:  read_only
        .address_space:  global
        .offset:         8
        .size:           8
        .value_kind:     global_buffer
      - .actual_access:  read_only
        .address_space:  global
        .offset:         16
        .size:           8
        .value_kind:     global_buffer
      - .offset:         24
        .size:           4
        .value_kind:     by_value
      - .offset:         32
        .size:           8
        .value_kind:     by_value
      - .offset:         40
        .size:           8
        .value_kind:     by_value
      - .offset:         48
        .size:           8
        .value_kind:     by_value
      - .offset:         56
        .size:           8
        .value_kind:     by_value
      - .offset:         64
        .size:           4
        .value_kind:     by_value
      - .offset:         68
        .size:           4
        .value_kind:     by_value
      - .offset:         72
        .size:           4
        .value_kind:     hidden_block_count_x
      - .offset:         76
        .size:           4
        .value_kind:     hidden_block_count_y
      - .offset:         80
        .size:           4
        .value_kind:     hidden_block_count_z
      - .offset:         84
        .size:           2
        .value_kind:     hidden_group_size_x
      - .offset:         86
        .size:           2
        .value_kind:     hidden_group_size_y
      - .offset:         88
        .size:           2
        .value_kind:     hidden_group_size_z
      - .offset:         90
        .size:           2
        .value_kind:     hidden_remainder_x
      - .offset:         92
        .size:           2
        .value_kind:     hidden_remainder_y
      - .offset:         94
        .size:           2
        .value_kind:     hidden_remainder_z
      - .offset:         112
        .size:           8
        .value_kind:     hidden_global_offset_x
      - .offset:         120
        .size:           8
        .value_kind:     hidden_global_offset_y
      - .offset:         128
        .size:           8
        .value_kind:     hidden_global_offset_z
      - .offset:         136
        .size:           2
        .value_kind:     hidden_grid_dims
    .group_segment_fixed_size: 0
    .kernarg_segment_align: 8
    .kernarg_segment_size: 328
    .language:       OpenCL C
    .language_version:
      - 2
      - 0
    .max_flat_workgroup_size: 1024
    .name:           _ZN2at6native29vectorized_scatter_add_kernelILi16EdlEEvPT0_PKS2_PKT1_illllii
    .private_segment_fixed_size: 0
    .sgpr_count:     22
    .sgpr_spill_count: 0
    .symbol:         _ZN2at6native29vectorized_scatter_add_kernelILi16EdlEEvPT0_PKS2_PKT1_illllii.kd
    .uniform_work_group_size: 1
    .uses_dynamic_stack: false
    .vgpr_count:     12
    .vgpr_spill_count: 0
    .wavefront_size: 32
  - .args:
      - .address_space:  global
        .offset:         0
        .size:           8
        .value_kind:     global_buffer
      - .actual_access:  read_only
        .address_space:  global
        .offset:         8
        .size:           8
        .value_kind:     global_buffer
      - .actual_access:  read_only
        .address_space:  global
        .offset:         16
        .size:           8
        .value_kind:     global_buffer
      - .offset:         24
        .size:           4
        .value_kind:     by_value
      - .offset:         32
        .size:           8
        .value_kind:     by_value
      - .offset:         40
        .size:           8
        .value_kind:     by_value
      - .offset:         48
        .size:           8
        .value_kind:     by_value
      - .offset:         56
        .size:           8
        .value_kind:     by_value
      - .offset:         64
        .size:           4
        .value_kind:     by_value
      - .offset:         68
        .size:           4
        .value_kind:     by_value
      - .offset:         72
        .size:           4
        .value_kind:     hidden_block_count_x
      - .offset:         76
        .size:           4
        .value_kind:     hidden_block_count_y
      - .offset:         80
        .size:           4
        .value_kind:     hidden_block_count_z
      - .offset:         84
        .size:           2
        .value_kind:     hidden_group_size_x
      - .offset:         86
        .size:           2
        .value_kind:     hidden_group_size_y
      - .offset:         88
        .size:           2
        .value_kind:     hidden_group_size_z
      - .offset:         90
        .size:           2
        .value_kind:     hidden_remainder_x
      - .offset:         92
        .size:           2
        .value_kind:     hidden_remainder_y
      - .offset:         94
        .size:           2
        .value_kind:     hidden_remainder_z
      - .offset:         112
        .size:           8
        .value_kind:     hidden_global_offset_x
      - .offset:         120
        .size:           8
        .value_kind:     hidden_global_offset_y
      - .offset:         128
        .size:           8
        .value_kind:     hidden_global_offset_z
      - .offset:         136
        .size:           2
        .value_kind:     hidden_grid_dims
    .group_segment_fixed_size: 0
    .kernarg_segment_align: 8
    .kernarg_segment_size: 328
    .language:       OpenCL C
    .language_version:
      - 2
      - 0
    .max_flat_workgroup_size: 1024
    .name:           _ZN2at6native29vectorized_scatter_add_kernelILi16EdiEEvPT0_PKS2_PKT1_illllii
    .private_segment_fixed_size: 0
    .sgpr_count:     22
    .sgpr_spill_count: 0
    .symbol:         _ZN2at6native29vectorized_scatter_add_kernelILi16EdiEEvPT0_PKS2_PKT1_illllii.kd
    .uniform_work_group_size: 1
    .uses_dynamic_stack: false
    .vgpr_count:     12
    .vgpr_spill_count: 0
    .wavefront_size: 32
  - .args:
      - .address_space:  global
        .offset:         0
        .size:           8
        .value_kind:     global_buffer
      - .actual_access:  read_only
        .address_space:  global
        .offset:         8
        .size:           8
        .value_kind:     global_buffer
      - .actual_access:  read_only
        .address_space:  global
        .offset:         16
        .size:           8
        .value_kind:     global_buffer
      - .offset:         24
        .size:           4
        .value_kind:     by_value
      - .offset:         32
        .size:           8
        .value_kind:     by_value
      - .offset:         40
        .size:           8
        .value_kind:     by_value
      - .offset:         48
        .size:           8
        .value_kind:     by_value
      - .offset:         56
        .size:           8
        .value_kind:     by_value
      - .offset:         64
        .size:           4
        .value_kind:     by_value
      - .offset:         68
        .size:           4
        .value_kind:     by_value
      - .offset:         72
        .size:           4
        .value_kind:     hidden_block_count_x
      - .offset:         76
        .size:           4
        .value_kind:     hidden_block_count_y
      - .offset:         80
        .size:           4
        .value_kind:     hidden_block_count_z
      - .offset:         84
        .size:           2
        .value_kind:     hidden_group_size_x
      - .offset:         86
        .size:           2
        .value_kind:     hidden_group_size_y
      - .offset:         88
        .size:           2
        .value_kind:     hidden_group_size_z
      - .offset:         90
        .size:           2
        .value_kind:     hidden_remainder_x
      - .offset:         92
        .size:           2
        .value_kind:     hidden_remainder_y
      - .offset:         94
        .size:           2
        .value_kind:     hidden_remainder_z
      - .offset:         112
        .size:           8
        .value_kind:     hidden_global_offset_x
      - .offset:         120
        .size:           8
        .value_kind:     hidden_global_offset_y
      - .offset:         128
        .size:           8
        .value_kind:     hidden_global_offset_z
      - .offset:         136
        .size:           2
        .value_kind:     hidden_grid_dims
    .group_segment_fixed_size: 0
    .kernarg_segment_align: 8
    .kernarg_segment_size: 328
    .language:       OpenCL C
    .language_version:
      - 2
      - 0
    .max_flat_workgroup_size: 1024
    .name:           _ZN2at6native29vectorized_scatter_add_kernelILi16EN3c104HalfElEEvPT0_PKS4_PKT1_illllii
    .private_segment_fixed_size: 0
    .sgpr_count:     19
    .sgpr_spill_count: 0
    .symbol:         _ZN2at6native29vectorized_scatter_add_kernelILi16EN3c104HalfElEEvPT0_PKS4_PKT1_illllii.kd
    .uniform_work_group_size: 1
    .uses_dynamic_stack: false
    .vgpr_count:     20
    .vgpr_spill_count: 0
    .wavefront_size: 32
  - .args:
      - .address_space:  global
        .offset:         0
        .size:           8
        .value_kind:     global_buffer
      - .actual_access:  read_only
        .address_space:  global
        .offset:         8
        .size:           8
        .value_kind:     global_buffer
      - .actual_access:  read_only
        .address_space:  global
        .offset:         16
        .size:           8
        .value_kind:     global_buffer
      - .offset:         24
        .size:           4
        .value_kind:     by_value
      - .offset:         32
        .size:           8
        .value_kind:     by_value
      - .offset:         40
        .size:           8
        .value_kind:     by_value
      - .offset:         48
        .size:           8
        .value_kind:     by_value
      - .offset:         56
        .size:           8
        .value_kind:     by_value
      - .offset:         64
        .size:           4
        .value_kind:     by_value
      - .offset:         68
        .size:           4
        .value_kind:     by_value
      - .offset:         72
        .size:           4
        .value_kind:     hidden_block_count_x
      - .offset:         76
        .size:           4
        .value_kind:     hidden_block_count_y
      - .offset:         80
        .size:           4
        .value_kind:     hidden_block_count_z
      - .offset:         84
        .size:           2
        .value_kind:     hidden_group_size_x
      - .offset:         86
        .size:           2
        .value_kind:     hidden_group_size_y
      - .offset:         88
        .size:           2
        .value_kind:     hidden_group_size_z
      - .offset:         90
        .size:           2
        .value_kind:     hidden_remainder_x
      - .offset:         92
        .size:           2
        .value_kind:     hidden_remainder_y
      - .offset:         94
        .size:           2
        .value_kind:     hidden_remainder_z
      - .offset:         112
        .size:           8
        .value_kind:     hidden_global_offset_x
      - .offset:         120
        .size:           8
        .value_kind:     hidden_global_offset_y
      - .offset:         128
        .size:           8
        .value_kind:     hidden_global_offset_z
      - .offset:         136
        .size:           2
        .value_kind:     hidden_grid_dims
    .group_segment_fixed_size: 0
    .kernarg_segment_align: 8
    .kernarg_segment_size: 328
    .language:       OpenCL C
    .language_version:
      - 2
      - 0
    .max_flat_workgroup_size: 1024
    .name:           _ZN2at6native29vectorized_scatter_add_kernelILi16EN3c104HalfEiEEvPT0_PKS4_PKT1_illllii
    .private_segment_fixed_size: 0
    .sgpr_count:     19
    .sgpr_spill_count: 0
    .symbol:         _ZN2at6native29vectorized_scatter_add_kernelILi16EN3c104HalfEiEEvPT0_PKS4_PKT1_illllii.kd
    .uniform_work_group_size: 1
    .uses_dynamic_stack: false
    .vgpr_count:     20
    .vgpr_spill_count: 0
    .wavefront_size: 32
  - .args:
      - .address_space:  global
        .offset:         0
        .size:           8
        .value_kind:     global_buffer
      - .actual_access:  read_only
        .address_space:  global
        .offset:         8
        .size:           8
        .value_kind:     global_buffer
      - .actual_access:  read_only
        .address_space:  global
        .offset:         16
        .size:           8
        .value_kind:     global_buffer
      - .offset:         24
        .size:           4
        .value_kind:     by_value
      - .offset:         32
        .size:           8
        .value_kind:     by_value
      - .offset:         40
        .size:           8
        .value_kind:     by_value
      - .offset:         48
        .size:           8
        .value_kind:     by_value
      - .offset:         56
        .size:           8
        .value_kind:     by_value
      - .offset:         64
        .size:           4
        .value_kind:     by_value
      - .offset:         68
        .size:           4
        .value_kind:     by_value
      - .offset:         72
        .size:           4
        .value_kind:     hidden_block_count_x
      - .offset:         76
        .size:           4
        .value_kind:     hidden_block_count_y
      - .offset:         80
        .size:           4
        .value_kind:     hidden_block_count_z
      - .offset:         84
        .size:           2
        .value_kind:     hidden_group_size_x
      - .offset:         86
        .size:           2
        .value_kind:     hidden_group_size_y
      - .offset:         88
        .size:           2
        .value_kind:     hidden_group_size_z
      - .offset:         90
        .size:           2
        .value_kind:     hidden_remainder_x
      - .offset:         92
        .size:           2
        .value_kind:     hidden_remainder_y
      - .offset:         94
        .size:           2
        .value_kind:     hidden_remainder_z
      - .offset:         112
        .size:           8
        .value_kind:     hidden_global_offset_x
      - .offset:         120
        .size:           8
        .value_kind:     hidden_global_offset_y
      - .offset:         128
        .size:           8
        .value_kind:     hidden_global_offset_z
      - .offset:         136
        .size:           2
        .value_kind:     hidden_grid_dims
    .group_segment_fixed_size: 0
    .kernarg_segment_align: 8
    .kernarg_segment_size: 328
    .language:       OpenCL C
    .language_version:
      - 2
      - 0
    .max_flat_workgroup_size: 1024
    .name:           _ZN2at6native29vectorized_scatter_add_kernelILi16EN3c108BFloat16ElEEvPT0_PKS4_PKT1_illllii
    .private_segment_fixed_size: 0
    .sgpr_count:     19
    .sgpr_spill_count: 0
    .symbol:         _ZN2at6native29vectorized_scatter_add_kernelILi16EN3c108BFloat16ElEEvPT0_PKS4_PKT1_illllii.kd
    .uniform_work_group_size: 1
    .uses_dynamic_stack: false
    .vgpr_count:     20
    .vgpr_spill_count: 0
    .wavefront_size: 32
  - .args:
      - .address_space:  global
        .offset:         0
        .size:           8
        .value_kind:     global_buffer
      - .actual_access:  read_only
        .address_space:  global
        .offset:         8
        .size:           8
        .value_kind:     global_buffer
      - .actual_access:  read_only
        .address_space:  global
        .offset:         16
        .size:           8
        .value_kind:     global_buffer
      - .offset:         24
        .size:           4
        .value_kind:     by_value
      - .offset:         32
        .size:           8
        .value_kind:     by_value
      - .offset:         40
        .size:           8
        .value_kind:     by_value
      - .offset:         48
        .size:           8
        .value_kind:     by_value
      - .offset:         56
        .size:           8
        .value_kind:     by_value
      - .offset:         64
        .size:           4
        .value_kind:     by_value
      - .offset:         68
        .size:           4
        .value_kind:     by_value
      - .offset:         72
        .size:           4
        .value_kind:     hidden_block_count_x
      - .offset:         76
        .size:           4
        .value_kind:     hidden_block_count_y
      - .offset:         80
        .size:           4
        .value_kind:     hidden_block_count_z
      - .offset:         84
        .size:           2
        .value_kind:     hidden_group_size_x
      - .offset:         86
        .size:           2
        .value_kind:     hidden_group_size_y
      - .offset:         88
        .size:           2
        .value_kind:     hidden_group_size_z
      - .offset:         90
        .size:           2
        .value_kind:     hidden_remainder_x
      - .offset:         92
        .size:           2
        .value_kind:     hidden_remainder_y
      - .offset:         94
        .size:           2
        .value_kind:     hidden_remainder_z
      - .offset:         112
        .size:           8
        .value_kind:     hidden_global_offset_x
      - .offset:         120
        .size:           8
        .value_kind:     hidden_global_offset_y
      - .offset:         128
        .size:           8
        .value_kind:     hidden_global_offset_z
      - .offset:         136
        .size:           2
        .value_kind:     hidden_grid_dims
    .group_segment_fixed_size: 0
    .kernarg_segment_align: 8
    .kernarg_segment_size: 328
    .language:       OpenCL C
    .language_version:
      - 2
      - 0
    .max_flat_workgroup_size: 1024
    .name:           _ZN2at6native29vectorized_scatter_add_kernelILi16EN3c108BFloat16EiEEvPT0_PKS4_PKT1_illllii
    .private_segment_fixed_size: 0
    .sgpr_count:     19
    .sgpr_spill_count: 0
    .symbol:         _ZN2at6native29vectorized_scatter_add_kernelILi16EN3c108BFloat16EiEEvPT0_PKS4_PKT1_illllii.kd
    .uniform_work_group_size: 1
    .uses_dynamic_stack: false
    .vgpr_count:     20
    .vgpr_spill_count: 0
    .wavefront_size: 32
amdhsa.target:   amdgcn-amd-amdhsa--gfx1250
amdhsa.version:
  - 1
  - 2
...

	.end_amdgpu_metadata
